;; amdgpu-corpus repo=ROCm/rocFFT kind=compiled arch=gfx906 opt=O3
	.text
	.amdgcn_target "amdgcn-amd-amdhsa--gfx906"
	.amdhsa_code_object_version 6
	.protected	bluestein_single_fwd_len1625_dim1_half_op_CI_CI ; -- Begin function bluestein_single_fwd_len1625_dim1_half_op_CI_CI
	.globl	bluestein_single_fwd_len1625_dim1_half_op_CI_CI
	.p2align	8
	.type	bluestein_single_fwd_len1625_dim1_half_op_CI_CI,@function
bluestein_single_fwd_len1625_dim1_half_op_CI_CI: ; @bluestein_single_fwd_len1625_dim1_half_op_CI_CI
; %bb.0:
	s_load_dwordx4 s[8:11], s[4:5], 0x28
	v_mul_u32_u24_e32 v1, 0x3f1, v0
	v_lshrrev_b32_e32 v1, 16, v1
	v_lshl_add_u32 v58, s6, 1, v1
	v_mov_b32_e32 v59, 0
	s_waitcnt lgkmcnt(0)
	v_cmp_gt_u64_e32 vcc, s[8:9], v[58:59]
	s_and_saveexec_b64 s[0:1], vcc
	s_cbranch_execz .LBB0_15
; %bb.1:
	s_load_dwordx4 s[0:3], s[4:5], 0x18
	v_mul_lo_u16_e32 v2, 0x41, v1
	v_sub_u16_e32 v95, v0, v2
	s_movk_i32 s18, 0x1000
	s_load_dwordx2 s[6:7], s[4:5], 0x38
	s_waitcnt lgkmcnt(0)
	s_load_dwordx4 s[12:15], s[0:1], 0x0
	s_waitcnt lgkmcnt(0)
	v_mad_u64_u32 v[2:3], s[0:1], s14, v58, 0
	v_mad_u64_u32 v[4:5], s[0:1], s12, v95, 0
	v_mov_b32_e32 v0, v3
	v_mov_b32_e32 v3, v5
	v_mad_u64_u32 v[5:6], s[0:1], s15, v58, v[0:1]
	v_mad_u64_u32 v[6:7], s[0:1], s13, v95, v[3:4]
	v_mov_b32_e32 v3, v5
	v_lshlrev_b64 v[2:3], 2, v[2:3]
	v_mov_b32_e32 v0, s11
	v_mov_b32_e32 v5, v6
	v_add_co_u32_e32 v6, vcc, s10, v2
	s_load_dwordx2 s[14:15], s[4:5], 0x0
	v_addc_co_u32_e32 v0, vcc, v0, v3, vcc
	v_lshlrev_b64 v[2:3], 2, v[4:5]
	v_lshlrev_b32_e32 v5, 2, v95
	v_add_co_u32_e32 v2, vcc, v6, v2
	v_addc_co_u32_e32 v3, vcc, v0, v3, vcc
	global_load_dword v4, v[2:3], off
	s_waitcnt lgkmcnt(0)
	global_load_dword v96, v5, s[14:15]
	global_load_dword v97, v5, s[14:15] offset:500
	s_load_dwordx4 s[8:11], s[2:3], 0x0
	s_mul_i32 s1, s13, 0x7d
	s_mul_hi_u32 s2, s12, 0x7d
	v_and_b32_e32 v0, 1, v1
	s_mul_i32 s0, s12, 0x7d
	s_add_i32 s1, s2, s1
	v_mov_b32_e32 v1, 0x659
	v_cmp_eq_u32_e32 vcc, 1, v0
	s_lshl_b64 s[16:17], s[0:1], 2
	v_cndmask_b32_e32 v6, 0, v1, vcc
	v_mov_b32_e32 v8, s17
	v_add_co_u32_e32 v0, vcc, s16, v2
	v_addc_co_u32_e32 v1, vcc, v3, v8, vcc
	global_load_dword v9, v[0:1], off
	v_add_co_u32_e32 v0, vcc, s16, v0
	v_addc_co_u32_e32 v1, vcc, v1, v8, vcc
	global_load_dword v10, v[0:1], off
	global_load_dword v94, v5, s[14:15] offset:1000
	global_load_dword v93, v5, s[14:15] offset:1500
	;; [unrolled: 1-line block ×6, first 2 shown]
	v_add_co_u32_e32 v0, vcc, s16, v0
	v_addc_co_u32_e32 v1, vcc, v1, v8, vcc
	global_load_dword v11, v[0:1], off
	global_load_dword v88, v5, s[14:15] offset:4000
	v_add_co_u32_e32 v0, vcc, s16, v0
	v_addc_co_u32_e32 v1, vcc, v1, v8, vcc
	global_load_dword v12, v[0:1], off
	v_add_co_u32_e32 v0, vcc, s16, v0
	v_addc_co_u32_e32 v1, vcc, v1, v8, vcc
	v_mov_b32_e32 v7, s15
	global_load_dword v13, v[0:1], off
	v_add_co_u32_e64 v56, s[2:3], s14, v5
	v_addc_co_u32_e64 v57, vcc, 0, v7, s[2:3]
	v_add_co_u32_e32 v0, vcc, s16, v0
	v_addc_co_u32_e32 v1, vcc, v1, v8, vcc
	global_load_dword v7, v[0:1], off
	v_add_co_u32_e32 v0, vcc, s16, v0
	v_addc_co_u32_e32 v1, vcc, v1, v8, vcc
	global_load_dword v14, v[0:1], off
	;; [unrolled: 3-line block ×4, first 2 shown]
	v_lshlrev_b32_e32 v98, 2, v6
	v_add_u32_e32 v83, v98, v5
	v_cmp_gt_u16_e64 s[0:1], 60, v95
	s_waitcnt vmcnt(18)
	v_lshrrev_b32_e32 v17, 16, v4
	s_waitcnt vmcnt(17)
	v_mul_f16_sdwa v0, v96, v17 dst_sel:DWORD dst_unused:UNUSED_PAD src0_sel:WORD_1 src1_sel:DWORD
	v_fma_f16 v18, v96, v4, v0
	v_add_co_u32_e32 v0, vcc, s18, v56
	v_addc_co_u32_e32 v1, vcc, 0, v57, vcc
	global_load_dword v87, v[0:1], off offset:404
	v_add_co_u32_e32 v2, vcc, s16, v2
	v_addc_co_u32_e32 v3, vcc, v3, v8, vcc
	global_load_dword v19, v[2:3], off
	global_load_dword v86, v[0:1], off offset:904
	v_add_co_u32_e32 v2, vcc, s16, v2
	v_addc_co_u32_e32 v3, vcc, v3, v8, vcc
	global_load_dword v20, v[2:3], off
	global_load_dword v85, v[0:1], off offset:1404
	v_add_co_u32_e32 v2, vcc, s16, v2
	v_mul_f16_sdwa v4, v96, v4 dst_sel:DWORD dst_unused:UNUSED_PAD src0_sel:WORD_1 src1_sel:DWORD
	v_addc_co_u32_e32 v3, vcc, v3, v8, vcc
	v_fma_f16 v4, v96, v17, -v4
	global_load_dword v17, v[2:3], off
	global_load_dword v84, v[0:1], off offset:1904
	s_waitcnt vmcnt(22)
	v_lshrrev_b32_e32 v5, 16, v9
	v_mul_f16_sdwa v6, v97, v5 dst_sel:DWORD dst_unused:UNUSED_PAD src0_sel:WORD_1 src1_sel:DWORD
	v_mul_f16_sdwa v8, v97, v9 dst_sel:DWORD dst_unused:UNUSED_PAD src0_sel:WORD_1 src1_sel:DWORD
	v_fma_f16 v6, v97, v9, v6
	v_fma_f16 v5, v97, v5, -v8
	v_pack_b32_f16 v4, v18, v4
	v_pack_b32_f16 v5, v6, v5
	ds_write2_b32 v83, v4, v5 offset1:125
	s_waitcnt vmcnt(21)
	v_lshrrev_b32_e32 v4, 16, v10
	s_waitcnt vmcnt(20)
	v_mul_f16_sdwa v5, v94, v4 dst_sel:DWORD dst_unused:UNUSED_PAD src0_sel:WORD_1 src1_sel:DWORD
	v_mul_f16_sdwa v6, v94, v10 dst_sel:DWORD dst_unused:UNUSED_PAD src0_sel:WORD_1 src1_sel:DWORD
	v_fma_f16 v5, v94, v10, v5
	v_fma_f16 v4, v94, v4, -v6
	v_pack_b32_f16 v5, v5, v4
	s_waitcnt vmcnt(14)
	v_lshrrev_b32_e32 v4, 16, v11
	v_mul_f16_sdwa v6, v93, v4 dst_sel:DWORD dst_unused:UNUSED_PAD src0_sel:WORD_1 src1_sel:DWORD
	v_mul_f16_sdwa v8, v93, v11 dst_sel:DWORD dst_unused:UNUSED_PAD src0_sel:WORD_1 src1_sel:DWORD
	v_fma_f16 v6, v93, v11, v6
	v_fma_f16 v4, v93, v4, -v8
	v_pack_b32_f16 v6, v6, v4
	v_add_u32_e32 v4, 0x200, v83
	ds_write2_b32 v4, v5, v6 offset0:122 offset1:247
	s_waitcnt vmcnt(12)
	v_lshrrev_b32_e32 v5, 16, v12
	v_mul_f16_sdwa v6, v92, v5 dst_sel:DWORD dst_unused:UNUSED_PAD src0_sel:WORD_1 src1_sel:DWORD
	v_mul_f16_sdwa v8, v92, v12 dst_sel:DWORD dst_unused:UNUSED_PAD src0_sel:WORD_1 src1_sel:DWORD
	v_fma_f16 v6, v92, v12, v6
	v_fma_f16 v5, v92, v5, -v8
	v_pack_b32_f16 v6, v6, v5
	s_waitcnt vmcnt(11)
	v_lshrrev_b32_e32 v5, 16, v13
	v_mul_f16_sdwa v8, v91, v5 dst_sel:DWORD dst_unused:UNUSED_PAD src0_sel:WORD_1 src1_sel:DWORD
	v_mul_f16_sdwa v9, v91, v13 dst_sel:DWORD dst_unused:UNUSED_PAD src0_sel:WORD_1 src1_sel:DWORD
	v_fma_f16 v8, v91, v13, v8
	v_fma_f16 v5, v91, v5, -v9
	v_pack_b32_f16 v8, v8, v5
	v_add_u32_e32 v5, 0x600, v83
	ds_write2_b32 v5, v6, v8 offset0:116 offset1:241
	s_waitcnt vmcnt(10)
	v_lshrrev_b32_e32 v6, 16, v7
	v_mul_f16_sdwa v8, v90, v6 dst_sel:DWORD dst_unused:UNUSED_PAD src0_sel:WORD_1 src1_sel:DWORD
	v_fma_f16 v8, v90, v7, v8
	v_mul_f16_sdwa v7, v90, v7 dst_sel:DWORD dst_unused:UNUSED_PAD src0_sel:WORD_1 src1_sel:DWORD
	v_fma_f16 v6, v90, v6, -v7
	v_pack_b32_f16 v7, v8, v6
	s_waitcnt vmcnt(9)
	v_lshrrev_b32_e32 v6, 16, v14
	v_mul_f16_sdwa v8, v89, v6 dst_sel:DWORD dst_unused:UNUSED_PAD src0_sel:WORD_1 src1_sel:DWORD
	v_mul_f16_sdwa v9, v89, v14 dst_sel:DWORD dst_unused:UNUSED_PAD src0_sel:WORD_1 src1_sel:DWORD
	v_fma_f16 v8, v89, v14, v8
	v_fma_f16 v6, v89, v6, -v9
	v_pack_b32_f16 v8, v8, v6
	v_add_u32_e32 v6, 0xa00, v83
	ds_write2_b32 v6, v7, v8 offset0:110 offset1:235
	s_waitcnt vmcnt(8)
	v_lshrrev_b32_e32 v7, 16, v15
	v_mul_f16_sdwa v8, v88, v7 dst_sel:DWORD dst_unused:UNUSED_PAD src0_sel:WORD_1 src1_sel:DWORD
	v_mul_f16_sdwa v9, v88, v15 dst_sel:DWORD dst_unused:UNUSED_PAD src0_sel:WORD_1 src1_sel:DWORD
	v_fma_f16 v8, v88, v15, v8
	v_fma_f16 v7, v88, v7, -v9
	v_pack_b32_f16 v8, v8, v7
	s_waitcnt vmcnt(7)
	v_lshrrev_b32_e32 v7, 16, v16
	s_waitcnt vmcnt(6)
	v_mul_f16_sdwa v9, v87, v7 dst_sel:DWORD dst_unused:UNUSED_PAD src0_sel:WORD_1 src1_sel:DWORD
	v_mul_f16_sdwa v10, v87, v16 dst_sel:DWORD dst_unused:UNUSED_PAD src0_sel:WORD_1 src1_sel:DWORD
	v_fma_f16 v9, v87, v16, v9
	v_fma_f16 v7, v87, v7, -v10
	v_pack_b32_f16 v9, v9, v7
	v_add_u32_e32 v7, 0xe00, v83
	ds_write2_b32 v7, v8, v9 offset0:104 offset1:229
	s_waitcnt vmcnt(5)
	v_lshrrev_b32_e32 v8, 16, v19
	s_waitcnt vmcnt(4)
	v_mul_f16_sdwa v9, v86, v8 dst_sel:DWORD dst_unused:UNUSED_PAD src0_sel:WORD_1 src1_sel:DWORD
	v_mul_f16_sdwa v10, v86, v19 dst_sel:DWORD dst_unused:UNUSED_PAD src0_sel:WORD_1 src1_sel:DWORD
	v_fma_f16 v9, v86, v19, v9
	v_fma_f16 v8, v86, v8, -v10
	v_pack_b32_f16 v9, v9, v8
	s_waitcnt vmcnt(3)
	v_lshrrev_b32_e32 v8, 16, v20
	s_waitcnt vmcnt(2)
	v_mul_f16_sdwa v10, v85, v8 dst_sel:DWORD dst_unused:UNUSED_PAD src0_sel:WORD_1 src1_sel:DWORD
	v_mul_f16_sdwa v11, v85, v20 dst_sel:DWORD dst_unused:UNUSED_PAD src0_sel:WORD_1 src1_sel:DWORD
	v_fma_f16 v10, v85, v20, v10
	v_fma_f16 v8, v85, v8, -v11
	v_pack_b32_f16 v10, v10, v8
	v_add_u32_e32 v8, 0x1200, v83
	ds_write2_b32 v8, v9, v10 offset0:98 offset1:223
	s_waitcnt vmcnt(1)
	v_lshrrev_b32_e32 v9, 16, v17
	s_waitcnt vmcnt(0)
	v_mul_f16_sdwa v10, v84, v9 dst_sel:DWORD dst_unused:UNUSED_PAD src0_sel:WORD_1 src1_sel:DWORD
	v_mul_f16_sdwa v11, v84, v17 dst_sel:DWORD dst_unused:UNUSED_PAD src0_sel:WORD_1 src1_sel:DWORD
	v_fma_f16 v10, v84, v17, v10
	v_fma_f16 v9, v84, v9, -v11
	v_pack_b32_f16 v9, v10, v9
	ds_write_b32 v83, v9 offset:6000
	s_and_saveexec_b64 s[18:19], s[0:1]
	s_cbranch_execz .LBB0_3
; %bb.2:
	v_mov_b32_e32 v9, 0xffffe994
	v_mad_u64_u32 v[2:3], s[20:21], s12, v9, v[2:3]
	s_mulk_i32 s13, 0xe994
	s_sub_i32 s12, s13, s12
	v_add_u32_e32 v3, s12, v3
	global_load_dword v9, v[2:3], off
	global_load_dword v10, v[56:57], off offset:260
	v_mov_b32_e32 v11, s17
	v_add_co_u32_e32 v2, vcc, s16, v2
	v_addc_co_u32_e32 v3, vcc, v3, v11, vcc
	global_load_dword v12, v[2:3], off
	global_load_dword v13, v[56:57], off offset:760
	v_add_co_u32_e32 v2, vcc, s16, v2
	v_addc_co_u32_e32 v3, vcc, v3, v11, vcc
	global_load_dword v14, v[2:3], off
	global_load_dword v15, v[56:57], off offset:1260
	;; [unrolled: 4-line block ×7, first 2 shown]
	global_load_dword v26, v[0:1], off offset:164
	v_add_co_u32_e32 v2, vcc, s16, v2
	v_addc_co_u32_e32 v3, vcc, v3, v11, vcc
	global_load_dword v27, v[2:3], off
	v_add_co_u32_e32 v2, vcc, s16, v2
	v_addc_co_u32_e32 v3, vcc, v3, v11, vcc
	global_load_dword v28, v[2:3], off
	global_load_dword v29, v[0:1], off offset:664
	global_load_dword v30, v[0:1], off offset:1164
	;; [unrolled: 1-line block ×4, first 2 shown]
	v_add_co_u32_e32 v0, vcc, s16, v2
	v_addc_co_u32_e32 v1, vcc, v3, v11, vcc
	global_load_dword v2, v[0:1], off
	v_add_co_u32_e32 v0, vcc, s16, v0
	v_addc_co_u32_e32 v1, vcc, v1, v11, vcc
	global_load_dword v3, v[0:1], off
	;; [unrolled: 3-line block ×3, first 2 shown]
	s_waitcnt vmcnt(25)
	v_lshrrev_b32_e32 v1, 16, v9
	s_waitcnt vmcnt(24)
	v_mul_f16_sdwa v11, v10, v9 dst_sel:DWORD dst_unused:UNUSED_PAD src0_sel:WORD_1 src1_sel:DWORD
	v_mul_f16_sdwa v33, v10, v1 dst_sel:DWORD dst_unused:UNUSED_PAD src0_sel:WORD_1 src1_sel:DWORD
	v_fma_f16 v1, v10, v1, -v11
	v_fma_f16 v9, v10, v9, v33
	v_pack_b32_f16 v1, v9, v1
	s_waitcnt vmcnt(23)
	v_lshrrev_b32_e32 v11, 16, v12
	s_waitcnt vmcnt(22)
	v_mul_f16_sdwa v10, v13, v11 dst_sel:DWORD dst_unused:UNUSED_PAD src0_sel:WORD_1 src1_sel:DWORD
	v_fma_f16 v9, v13, v12, v10
	v_mul_f16_sdwa v10, v13, v12 dst_sel:DWORD dst_unused:UNUSED_PAD src0_sel:WORD_1 src1_sel:DWORD
	v_fma_f16 v10, v13, v11, -v10
	v_pack_b32_f16 v9, v9, v10
	ds_write2_b32 v83, v1, v9 offset0:65 offset1:190
	s_waitcnt vmcnt(21)
	v_lshrrev_b32_e32 v1, 16, v14
	s_waitcnt vmcnt(20)
	v_mul_f16_sdwa v9, v15, v1 dst_sel:DWORD dst_unused:UNUSED_PAD src0_sel:WORD_1 src1_sel:DWORD
	v_mul_f16_sdwa v10, v15, v14 dst_sel:DWORD dst_unused:UNUSED_PAD src0_sel:WORD_1 src1_sel:DWORD
	v_fma_f16 v9, v15, v14, v9
	v_fma_f16 v1, v15, v1, -v10
	v_pack_b32_f16 v1, v9, v1
	s_waitcnt vmcnt(19)
	v_lshrrev_b32_e32 v9, 16, v16
	s_waitcnt vmcnt(18)
	v_mul_f16_sdwa v10, v17, v9 dst_sel:DWORD dst_unused:UNUSED_PAD src0_sel:WORD_1 src1_sel:DWORD
	v_mul_f16_sdwa v11, v17, v16 dst_sel:DWORD dst_unused:UNUSED_PAD src0_sel:WORD_1 src1_sel:DWORD
	v_fma_f16 v10, v17, v16, v10
	v_fma_f16 v9, v17, v9, -v11
	v_pack_b32_f16 v9, v10, v9
	v_add_u32_e32 v10, 0x400, v83
	ds_write2_b32 v10, v1, v9 offset0:59 offset1:184
	s_waitcnt vmcnt(17)
	v_lshrrev_b32_e32 v1, 16, v18
	s_waitcnt vmcnt(16)
	v_mul_f16_sdwa v9, v19, v1 dst_sel:DWORD dst_unused:UNUSED_PAD src0_sel:WORD_1 src1_sel:DWORD
	v_mul_f16_sdwa v10, v19, v18 dst_sel:DWORD dst_unused:UNUSED_PAD src0_sel:WORD_1 src1_sel:DWORD
	v_fma_f16 v9, v19, v18, v9
	v_fma_f16 v1, v19, v1, -v10
	v_pack_b32_f16 v1, v9, v1
	s_waitcnt vmcnt(15)
	v_lshrrev_b32_e32 v9, 16, v20
	s_waitcnt vmcnt(14)
	v_mul_f16_sdwa v10, v21, v9 dst_sel:DWORD dst_unused:UNUSED_PAD src0_sel:WORD_1 src1_sel:DWORD
	v_mul_f16_sdwa v11, v21, v20 dst_sel:DWORD dst_unused:UNUSED_PAD src0_sel:WORD_1 src1_sel:DWORD
	v_fma_f16 v10, v21, v20, v10
	v_fma_f16 v9, v21, v9, -v11
	v_pack_b32_f16 v9, v10, v9
	v_add_u32_e32 v10, 0x800, v83
	ds_write2_b32 v10, v1, v9 offset0:53 offset1:178
	s_waitcnt vmcnt(13)
	v_lshrrev_b32_e32 v1, 16, v22
	s_waitcnt vmcnt(12)
	v_mul_f16_sdwa v9, v23, v1 dst_sel:DWORD dst_unused:UNUSED_PAD src0_sel:WORD_1 src1_sel:DWORD
	v_mul_f16_sdwa v10, v23, v22 dst_sel:DWORD dst_unused:UNUSED_PAD src0_sel:WORD_1 src1_sel:DWORD
	v_fma_f16 v9, v23, v22, v9
	v_fma_f16 v1, v23, v1, -v10
	v_pack_b32_f16 v1, v9, v1
	s_waitcnt vmcnt(11)
	v_lshrrev_b32_e32 v9, 16, v24
	s_waitcnt vmcnt(10)
	v_mul_f16_sdwa v10, v25, v9 dst_sel:DWORD dst_unused:UNUSED_PAD src0_sel:WORD_1 src1_sel:DWORD
	v_mul_f16_sdwa v11, v25, v24 dst_sel:DWORD dst_unused:UNUSED_PAD src0_sel:WORD_1 src1_sel:DWORD
	v_fma_f16 v10, v25, v24, v10
	v_fma_f16 v9, v25, v9, -v11
	v_pack_b32_f16 v9, v10, v9
	v_add_u32_e32 v10, 0xc00, v83
	ds_write2_b32 v10, v1, v9 offset0:47 offset1:172
	s_waitcnt vmcnt(8)
	v_lshrrev_b32_e32 v1, 16, v27
	v_mul_f16_sdwa v9, v26, v1 dst_sel:DWORD dst_unused:UNUSED_PAD src0_sel:WORD_1 src1_sel:DWORD
	v_mul_f16_sdwa v10, v26, v27 dst_sel:DWORD dst_unused:UNUSED_PAD src0_sel:WORD_1 src1_sel:DWORD
	v_fma_f16 v9, v26, v27, v9
	v_fma_f16 v1, v26, v1, -v10
	v_pack_b32_f16 v1, v9, v1
	s_waitcnt vmcnt(7)
	v_lshrrev_b32_e32 v9, 16, v28
	s_waitcnt vmcnt(6)
	v_mul_f16_sdwa v10, v29, v9 dst_sel:DWORD dst_unused:UNUSED_PAD src0_sel:WORD_1 src1_sel:DWORD
	v_mul_f16_sdwa v11, v29, v28 dst_sel:DWORD dst_unused:UNUSED_PAD src0_sel:WORD_1 src1_sel:DWORD
	v_fma_f16 v10, v29, v28, v10
	v_fma_f16 v9, v29, v9, -v11
	v_pack_b32_f16 v9, v10, v9
	v_add_u32_e32 v10, 0x1000, v83
	ds_write2_b32 v10, v1, v9 offset0:41 offset1:166
	s_waitcnt vmcnt(2)
	v_lshrrev_b32_e32 v1, 16, v2
	v_mul_f16_sdwa v9, v30, v1 dst_sel:DWORD dst_unused:UNUSED_PAD src0_sel:WORD_1 src1_sel:DWORD
	v_fma_f16 v9, v30, v2, v9
	v_mul_f16_sdwa v2, v30, v2 dst_sel:DWORD dst_unused:UNUSED_PAD src0_sel:WORD_1 src1_sel:DWORD
	v_fma_f16 v1, v30, v1, -v2
	s_waitcnt vmcnt(1)
	v_lshrrev_b32_e32 v2, 16, v3
	v_pack_b32_f16 v1, v9, v1
	v_mul_f16_sdwa v9, v31, v2 dst_sel:DWORD dst_unused:UNUSED_PAD src0_sel:WORD_1 src1_sel:DWORD
	v_fma_f16 v9, v31, v3, v9
	v_mul_f16_sdwa v3, v31, v3 dst_sel:DWORD dst_unused:UNUSED_PAD src0_sel:WORD_1 src1_sel:DWORD
	v_fma_f16 v2, v31, v2, -v3
	v_pack_b32_f16 v2, v9, v2
	v_add_u32_e32 v3, 0x1400, v83
	ds_write2_b32 v3, v1, v2 offset0:35 offset1:160
	s_waitcnt vmcnt(0)
	v_lshrrev_b32_e32 v1, 16, v0
	v_mul_f16_sdwa v2, v32, v1 dst_sel:DWORD dst_unused:UNUSED_PAD src0_sel:WORD_1 src1_sel:DWORD
	v_fma_f16 v2, v32, v0, v2
	v_mul_f16_sdwa v0, v32, v0 dst_sel:DWORD dst_unused:UNUSED_PAD src0_sel:WORD_1 src1_sel:DWORD
	v_fma_f16 v0, v32, v1, -v0
	v_pack_b32_f16 v0, v2, v0
	ds_write_b32 v83, v0 offset:6260
.LBB0_3:
	s_or_b64 exec, exec, s[18:19]
	s_waitcnt lgkmcnt(0)
	s_barrier
	ds_read2_b32 v[12:13], v83 offset1:125
	ds_read2_b32 v[20:21], v4 offset0:122 offset1:247
	ds_read2_b32 v[16:17], v5 offset0:116 offset1:241
	;; [unrolled: 1-line block ×5, first 2 shown]
	ds_read_b32 v25, v83 offset:6000
	s_load_dwordx2 s[4:5], s[4:5], 0x8
	v_mov_b32_e32 v0, 0
                                        ; implicit-def: $vgpr24
                                        ; implicit-def: $vgpr11
                                        ; implicit-def: $vgpr9
                                        ; implicit-def: $vgpr7
                                        ; implicit-def: $vgpr5
                                        ; implicit-def: $vgpr3
	s_and_saveexec_b64 s[12:13], s[0:1]
	s_cbranch_execz .LBB0_5
; %bb.4:
	v_add_u32_e32 v2, 0x400, v83
	v_add_u32_e32 v4, 0x800, v83
	;; [unrolled: 1-line block ×5, first 2 shown]
	ds_read2_b32 v[0:1], v83 offset0:65 offset1:190
	ds_read2_b32 v[2:3], v2 offset0:59 offset1:184
	;; [unrolled: 1-line block ×6, first 2 shown]
	ds_read_b32 v24, v83 offset:6260
.LBB0_5:
	s_or_b64 exec, exec, s[12:13]
	s_waitcnt lgkmcnt(0)
	v_pk_add_f16 v26, v12, v13
	v_pk_add_f16 v26, v26, v20
	;; [unrolled: 1-line block ×11, first 2 shown]
	s_mov_b32 s13, 0x3b15388b
	v_pk_add_f16 v29, v26, v23
	v_pk_add_f16 v31, v13, v25 neg_lo:[0,1] neg_hi:[0,1]
	v_pk_mul_f16 v26, v30, s13
	s_mov_b32 s13, 0xba95b770
	v_pk_fma_f16 v33, v31, s13, v26 op_sel:[0,0,1] op_sel_hi:[1,1,0] neg_lo:[1,0,0] neg_hi:[1,0,0]
	v_pk_fma_f16 v34, v31, s13, v26 op_sel:[0,0,1] op_sel_hi:[1,1,0]
	s_mov_b32 s24, 0xffff
	s_mov_b32 s12, 0xb770
	s_movk_i32 s16, 0x388b
	v_bfi_b32 v26, s24, v34, v33
	v_lshrrev_b32_e32 v35, 16, v30
	v_mul_f16_e32 v36, 0xba95, v31
	s_movk_i32 s14, 0x3b15
	s_mov_b32 s26, 0xba95
	v_mul_f16_sdwa v32, v31, s12 dst_sel:DWORD dst_unused:UNUSED_PAD src0_sel:WORD_1 src1_sel:DWORD
	v_pk_add_f16 v28, v12, v26 op_sel:[1,0] op_sel_hi:[0,1]
	v_fma_f16 v26, v35, s16, v36
	v_pk_add_f16 v38, v20, v23 neg_lo:[0,1] neg_hi:[0,1]
	v_fma_f16 v13, v30, s14, -v32
	v_add_f16_sdwa v37, v12, v26 dst_sel:DWORD dst_unused:UNUSED_PAD src0_sel:WORD_1 src1_sel:DWORD
	v_pk_add_f16 v26, v23, v20
	v_mul_f16_sdwa v20, v38, s26 dst_sel:DWORD dst_unused:UNUSED_PAD src0_sel:WORD_1 src1_sel:DWORD
	v_add_f16_e32 v13, v12, v13
	v_fma_f16 v23, v26, s16, -v20
	s_mov_b32 s13, 0x388bb5ac
	v_add_f16_e32 v39, v23, v13
	v_pk_mul_f16 v23, v26, s13
	s_mov_b32 s13, 0xbb7bba95
	v_pk_fma_f16 v13, v38, s13, v23 op_sel:[0,0,1] op_sel_hi:[1,1,0] neg_lo:[1,0,0] neg_hi:[1,0,0]
	v_pk_fma_f16 v27, v38, s13, v23 op_sel:[0,0,1] op_sel_hi:[1,1,0]
	v_bfi_b32 v23, s24, v27, v13
	s_mov_b32 s27, 0xbbf1
	s_mov_b32 s19, 0xb5ac
	v_pk_add_f16 v40, v23, v28
	v_lshrrev_b32_e32 v23, 16, v26
	v_mul_f16_e32 v28, 0xbb7b, v38
	v_pk_add_f16 v51, v22, v21
	v_pk_add_f16 v22, v21, v22 neg_lo:[0,1] neg_hi:[0,1]
	s_movk_i32 s17, 0x2fb7
	s_mov_b32 s18, 0xbb7b
	v_fma_f16 v41, v23, s19, v28
	v_mul_f16_sdwa v52, v22, s27 dst_sel:DWORD dst_unused:UNUSED_PAD src0_sel:WORD_1 src1_sel:DWORD
	s_mov_b32 s13, 0x2fb7bbc4
	v_pk_add_f16 v59, v19, v16
	v_pk_add_f16 v16, v16, v19 neg_lo:[0,1] neg_hi:[0,1]
	v_add_f16_e32 v37, v41, v37
	v_fma_f16 v21, v51, s17, -v52
	v_pk_mul_f16 v41, v51, s13
	s_mov_b32 s13, 0xb3a8bbf1
	v_mul_f16_sdwa v60, v16, s18 dst_sel:DWORD dst_unused:UNUSED_PAD src0_sel:WORD_1 src1_sel:DWORD
	s_mov_b32 s20, 0xb94e
	v_add_f16_e32 v39, v21, v39
	v_pk_fma_f16 v21, v22, s13, v41 op_sel:[0,0,1] op_sel_hi:[1,1,0] neg_lo:[1,0,0] neg_hi:[1,0,0]
	v_pk_fma_f16 v53, v22, s13, v41 op_sel:[0,0,1] op_sel_hi:[1,1,0]
	v_fma_f16 v19, v59, s19, -v60
	s_mov_b32 s13, 0xb5acb9fd
	v_pk_add_f16 v64, v18, v17
	v_pk_add_f16 v17, v17, v18 neg_lo:[0,1] neg_hi:[0,1]
	s_mov_b32 s22, 0xb9fd
	v_add_f16_e32 v19, v19, v39
	v_pk_mul_f16 v39, v59, s13
	s_mov_b32 s13, 0x394ebb7b
	v_mul_f16_sdwa v65, v17, s20 dst_sel:DWORD dst_unused:UNUSED_PAD src0_sel:WORD_1 src1_sel:DWORD
	v_bfi_b32 v41, s24, v53, v21
	v_pk_fma_f16 v61, v16, s13, v39 op_sel:[0,0,1] op_sel_hi:[1,1,0] neg_lo:[1,0,0] neg_hi:[1,0,0]
	v_pk_fma_f16 v62, v16, s13, v39 op_sel:[0,0,1] op_sel_hi:[1,1,0]
	v_fma_f16 v18, v64, s22, -v65
	s_mov_b32 s13, 0xb9fd2fb7
	s_mov_b32 s25, 0xbbc4
	v_pk_add_f16 v40, v41, v40
	v_lshrrev_b32_e32 v54, 16, v51
	v_mul_f16_e32 v55, 0xb3a8, v22
	v_bfi_b32 v39, s24, v62, v61
	v_add_f16_e32 v18, v18, v19
	v_pk_mul_f16 v19, v64, s13
	s_mov_b32 s13, 0x3bf1b94e
	s_mov_b32 s23, 0xb3a8
	v_fma_f16 v41, v54, s25, v55
	v_pk_add_f16 v39, v39, v40
	v_lshrrev_b32_e32 v40, 16, v59
	v_mul_f16_e32 v63, 0x394e, v16
	v_pk_fma_f16 v66, v17, s13, v19 op_sel:[0,0,1] op_sel_hi:[1,1,0] neg_lo:[1,0,0] neg_hi:[1,0,0]
	v_pk_fma_f16 v67, v17, s13, v19 op_sel:[0,0,1] op_sel_hi:[1,1,0]
	v_pk_add_f16 v70, v15, v14
	v_pk_add_f16 v71, v14, v15 neg_lo:[0,1] neg_hi:[0,1]
	s_mov_b32 s21, 0xbbc43b15
	v_add_f16_e32 v37, v41, v37
	v_fma_f16 v41, v40, s22, v63
	v_bfi_b32 v19, s24, v67, v66
	v_lshrrev_b32_e32 v68, 16, v64
	v_mul_f16_e32 v69, 0x3bf1, v17
	v_mul_f16_sdwa v72, v71, s23 dst_sel:DWORD dst_unused:UNUSED_PAD src0_sel:WORD_1 src1_sel:DWORD
	s_mov_b32 s13, 0x3770b3a8
	v_pk_mul_f16 v73, v70, s21
	v_add_f16_e32 v37, v41, v37
	v_pk_add_f16 v19, v19, v39
	v_fma_f16 v39, v68, s17, v69
	v_fma_f16 v14, v70, s25, -v72
	v_pk_fma_f16 v74, v71, s13, v73 op_sel:[0,0,1] op_sel_hi:[1,1,0] neg_lo:[1,0,0] neg_hi:[1,0,0]
	v_pk_fma_f16 v15, v71, s13, v73 op_sel:[0,0,1] op_sel_hi:[1,1,0]
	v_lshrrev_b32_e32 v75, 16, v70
	v_mul_f16_e32 v76, 0x3770, v71
	v_add_f16_e32 v37, v39, v37
	v_add_f16_e32 v14, v14, v18
	v_bfi_b32 v15, s24, v15, v74
	v_fma_f16 v18, v75, s14, v76
	v_pk_add_f16 v15, v15, v19
	v_add_f16_e32 v18, v18, v37
	v_alignbit_b32 v18, v18, v15, 16
	v_pack_b32_f16 v14, v14, v15
	v_mul_lo_u16_e32 v15, 13, v95
	v_lshl_add_u32 v101, v15, 2, v98
	s_barrier
	ds_write2_b32 v101, v14, v18 offset0:1 offset1:2
	v_mul_f16_sdwa v14, v31, s27 dst_sel:DWORD dst_unused:UNUSED_PAD src0_sel:WORD_1 src1_sel:DWORD
	v_fma_f16 v15, v30, s17, -v14
	v_mul_f16_sdwa v77, v38, s23 dst_sel:DWORD dst_unused:UNUSED_PAD src0_sel:WORD_1 src1_sel:DWORD
	v_add_f16_e32 v15, v12, v15
	v_fma_f16 v18, v26, s25, -v77
	v_add_f16_e32 v15, v18, v15
	v_mul_f16_e32 v18, 0xbbf1, v31
	v_fma_f16 v19, v35, s17, v18
	v_mul_f16_e32 v78, 0xb3a8, v38
	v_add_f16_sdwa v19, v12, v19 dst_sel:DWORD dst_unused:UNUSED_PAD src0_sel:WORD_1 src1_sel:DWORD
	v_fma_f16 v37, v23, s25, v78
	v_add_f16_e32 v19, v37, v19
	v_mul_f16_sdwa v37, v31, s18 dst_sel:DWORD dst_unused:UNUSED_PAD src0_sel:WORD_1 src1_sel:DWORD
	s_movk_i32 s31, 0x394e
	v_fma_f16 v39, v30, s19, -v37
	v_mul_f16_sdwa v41, v38, s31 dst_sel:DWORD dst_unused:UNUSED_PAD src0_sel:WORD_1 src1_sel:DWORD
	v_add_f16_e32 v39, v12, v39
	v_fma_f16 v42, v26, s22, -v41
	v_add_f16_e32 v39, v42, v39
	v_mul_f16_e32 v42, 0xbb7b, v31
	v_fma_f16 v43, v35, s19, v42
	v_mul_f16_e32 v44, 0x394e, v38
	s_movk_i32 s21, 0x3b7b
	v_add_f16_sdwa v43, v12, v43 dst_sel:DWORD dst_unused:UNUSED_PAD src0_sel:WORD_1 src1_sel:DWORD
	v_fma_f16 v45, v23, s22, v44
	v_mul_f16_sdwa v79, v22, s21 dst_sel:DWORD dst_unused:UNUSED_PAD src0_sel:WORD_1 src1_sel:DWORD
	v_add_f16_e32 v43, v45, v43
	v_fma_f16 v45, v51, s19, -v79
	v_mul_f16_e32 v80, 0x3b7b, v22
	v_add_f16_e32 v15, v45, v15
	v_fma_f16 v45, v54, s19, v80
	s_movk_i32 s28, 0x3770
	v_add_f16_e32 v19, v45, v19
	v_mul_f16_sdwa v45, v22, s28 dst_sel:DWORD dst_unused:UNUSED_PAD src0_sel:WORD_1 src1_sel:DWORD
	v_fma_f16 v46, v51, s14, -v45
	v_add_f16_e32 v39, v46, v39
	v_mul_f16_e32 v46, 0x3770, v22
	v_fma_f16 v47, v54, s14, v46
	v_mul_f16_sdwa v81, v16, s28 dst_sel:DWORD dst_unused:UNUSED_PAD src0_sel:WORD_1 src1_sel:DWORD
	v_add_f16_e32 v43, v47, v43
	v_fma_f16 v47, v59, s14, -v81
	v_mul_f16_e32 v82, 0x3770, v16
	v_add_f16_e32 v15, v47, v15
	v_fma_f16 v47, v40, s14, v82
	v_add_f16_e32 v19, v47, v19
	v_mul_f16_sdwa v47, v16, s27 dst_sel:DWORD dst_unused:UNUSED_PAD src0_sel:WORD_1 src1_sel:DWORD
	v_fma_f16 v48, v59, s17, -v47
	v_add_f16_e32 v39, v48, v39
	v_mul_f16_e32 v48, 0xbbf1, v16
	v_fma_f16 v49, v40, s17, v48
	v_mul_f16_sdwa v99, v17, s26 dst_sel:DWORD dst_unused:UNUSED_PAD src0_sel:WORD_1 src1_sel:DWORD
	v_add_f16_e32 v43, v49, v43
	v_fma_f16 v49, v64, s16, -v99
	v_mul_f16_e32 v100, 0xba95, v17
	v_add_f16_e32 v15, v49, v15
	v_fma_f16 v49, v68, s16, v100
	s_movk_i32 s33, 0x33a8
	v_add_f16_e32 v19, v49, v19
	v_mul_f16_sdwa v49, v17, s33 dst_sel:DWORD dst_unused:UNUSED_PAD src0_sel:WORD_1 src1_sel:DWORD
	v_fma_f16 v50, v64, s25, -v49
	v_add_f16_e32 v39, v50, v39
	v_mul_f16_e32 v50, 0x33a8, v17
	v_fma_f16 v102, v68, s25, v50
	v_mul_f16_sdwa v104, v71, s20 dst_sel:DWORD dst_unused:UNUSED_PAD src0_sel:WORD_1 src1_sel:DWORD
	v_add_f16_e32 v43, v102, v43
	v_fma_f16 v102, v70, s22, -v104
	v_mul_f16_e32 v105, 0xb9fd, v75
	v_add_f16_e32 v15, v102, v15
	v_fma_f16 v102, v71, s20, v105
	s_movk_i32 s29, 0x3a95
	v_add_f16_e32 v19, v102, v19
	v_mul_f16_sdwa v102, v71, s29 dst_sel:DWORD dst_unused:UNUSED_PAD src0_sel:WORD_1 src1_sel:DWORD
	v_fma_f16 v103, v70, s16, -v102
	v_add_f16_e32 v39, v103, v39
	v_mul_f16_e32 v103, 0x3a95, v71
	v_fma_f16 v106, v75, s16, v103
	v_add_f16_e32 v43, v106, v43
	v_pack_b32_f16 v39, v39, v43
	v_pack_b32_f16 v15, v15, v19
	v_mul_f16_sdwa v19, v31, s20 dst_sel:DWORD dst_unused:UNUSED_PAD src0_sel:WORD_1 src1_sel:DWORD
	s_movk_i32 s30, 0x3bf1
	ds_write2_b32 v101, v15, v39 offset0:3 offset1:4
	v_pk_add_f16 v15, v29, v25
	v_fma_f16 v25, v30, s22, -v19
	v_mul_f16_sdwa v29, v38, s30 dst_sel:DWORD dst_unused:UNUSED_PAD src0_sel:WORD_1 src1_sel:DWORD
	v_add_f16_e32 v25, v12, v25
	v_fma_f16 v39, v26, s17, -v29
	v_add_f16_e32 v25, v39, v25
	v_mul_f16_e32 v39, 0xb94e, v31
	v_fma_f16 v43, v35, s22, v39
	v_mul_f16_e32 v106, 0x3bf1, v38
	v_add_f16_sdwa v43, v12, v43 dst_sel:DWORD dst_unused:UNUSED_PAD src0_sel:WORD_1 src1_sel:DWORD
	v_fma_f16 v107, v23, s17, v106
	v_add_f16_e32 v43, v107, v43
	v_mul_f16_sdwa v107, v22, s26 dst_sel:DWORD dst_unused:UNUSED_PAD src0_sel:WORD_1 src1_sel:DWORD
	v_fma_f16 v108, v51, s16, -v107
	v_add_f16_e32 v25, v108, v25
	v_mul_f16_e32 v108, 0xba95, v22
	v_fma_f16 v109, v54, s16, v108
	v_add_f16_e32 v43, v109, v43
	v_mul_f16_sdwa v109, v16, s33 dst_sel:DWORD dst_unused:UNUSED_PAD src0_sel:WORD_1 src1_sel:DWORD
	v_fma_f16 v110, v59, s25, -v109
	v_add_f16_e32 v25, v110, v25
	v_mul_f16_e32 v110, 0x33a8, v16
	;; [unrolled: 6-line block ×4, first 2 shown]
	v_fma_f16 v115, v75, s19, v114
	v_add_f16_e32 v43, v115, v43
	v_pack_b32_f16 v25, v25, v43
	ds_write2_b32 v101, v15, v25 offset1:5
	v_fma_f16 v15, v35, s16, -v36
	v_fma_f16 v32, v30, s14, v32
	v_fma_f16 v14, v30, s17, v14
	;; [unrolled: 1-line block ×4, first 2 shown]
	v_pk_mul_f16 v30, v30, s25 op_sel_hi:[1,0]
	v_fma_f16 v18, v35, s17, -v18
	v_fma_f16 v25, v35, s19, -v42
	;; [unrolled: 1-line block ×3, first 2 shown]
	v_pk_fma_f16 v37, v31, s23, v30 op_sel:[0,0,1] op_sel_hi:[1,0,0] neg_lo:[1,0,0] neg_hi:[1,0,0]
	v_pk_fma_f16 v30, v31, s23, v30 op_sel:[0,0,1] op_sel_hi:[1,0,0]
	v_add_f16_e32 v115, v12, v32
	v_pk_add_f16 v116, v12, v34 op_sel:[1,0] op_sel_hi:[0,1]
	v_add_f16_sdwa v117, v12, v15 dst_sel:DWORD dst_unused:UNUSED_PAD src0_sel:WORD_1 src1_sel:DWORD
	v_add_f16_e32 v118, v12, v14
	v_add_f16_sdwa v119, v12, v18 dst_sel:DWORD dst_unused:UNUSED_PAD src0_sel:WORD_1 src1_sel:DWORD
	v_add_f16_e32 v14, v12, v36
	;; [unrolled: 2-line block ×3, first 2 shown]
	v_add_f16_sdwa v19, v12, v35 dst_sel:DWORD dst_unused:UNUSED_PAD src0_sel:WORD_1 src1_sel:DWORD
	v_add_f16_sdwa v120, v12, v33 dst_sel:DWORD dst_unused:UNUSED_PAD src0_sel:WORD_1 src1_sel:DWORD
	v_pk_add_f16 v25, v12, v37 op_sel:[1,0] op_sel_hi:[0,1]
	v_pk_add_f16 v12, v12, v30 op_sel:[1,0] op_sel_hi:[0,1]
	v_pk_mul_f16 v30, v26, s14 op_sel_hi:[1,0]
	v_pk_fma_f16 v31, v38, s28, v30 op_sel:[0,0,1] op_sel_hi:[1,0,0] neg_lo:[1,0,0] neg_hi:[1,0,0]
	v_pk_fma_f16 v30, v38, s28, v30 op_sel:[0,0,1] op_sel_hi:[1,0,0]
	v_pk_add_f16 v12, v30, v12
	v_pk_mul_f16 v30, v51, s22 op_sel_hi:[1,0]
	v_pk_add_f16 v25, v31, v25
	v_pk_fma_f16 v31, v22, s20, v30 op_sel:[0,0,1] op_sel_hi:[1,0,0] neg_lo:[1,0,0] neg_hi:[1,0,0]
	v_pk_fma_f16 v22, v22, s20, v30 op_sel:[0,0,1] op_sel_hi:[1,0,0]
	v_pk_add_f16 v12, v22, v12
	v_pk_mul_f16 v22, v59, s16 op_sel_hi:[1,0]
	v_pk_fma_f16 v30, v16, s29, v22 op_sel:[0,0,1] op_sel_hi:[1,0,0] neg_lo:[1,0,0] neg_hi:[1,0,0]
	v_pk_fma_f16 v16, v16, s29, v22 op_sel:[0,0,1] op_sel_hi:[1,0,0]
	v_pk_add_f16 v12, v16, v12
	v_pk_mul_f16 v16, v64, s19 op_sel_hi:[1,0]
	v_pk_add_f16 v25, v31, v25
	v_pk_fma_f16 v22, v17, s18, v16 op_sel:[0,0,1] op_sel_hi:[1,0,0] neg_lo:[1,0,0] neg_hi:[1,0,0]
	v_pk_fma_f16 v16, v17, s18, v16 op_sel:[0,0,1] op_sel_hi:[1,0,0]
	v_pk_add_f16 v25, v30, v25
	v_pk_add_f16 v12, v16, v12
	v_pk_mul_f16 v16, v70, s17 op_sel_hi:[1,0]
	v_pk_add_f16 v22, v22, v25
	v_pk_fma_f16 v17, v71, s30, v16 op_sel:[0,0,1] op_sel_hi:[1,0,0] neg_lo:[1,0,0] neg_hi:[1,0,0]
	v_pk_fma_f16 v16, v71, s30, v16 op_sel:[0,0,1] op_sel_hi:[1,0,0]
	v_pk_add_f16 v17, v17, v22
	v_pk_add_f16 v12, v16, v12
	v_alignbit_b32 v16, v17, v12, 16
	v_alignbit_b32 v12, v12, v17, 16
	ds_write2_b32 v101, v12, v16 offset0:6 offset1:7
	v_fma_f16 v12, v26, s22, v41
	v_add_f16_e32 v12, v12, v14
	v_fma_f16 v14, v23, s22, -v44
	v_fma_f16 v17, v51, s14, v45
	v_add_f16_e32 v14, v14, v15
	v_fma_f16 v15, v26, s17, v29
	v_add_f16_e32 v12, v17, v12
	v_fma_f16 v17, v54, s14, -v46
	v_add_f16_e32 v15, v15, v18
	v_fma_f16 v16, v23, s17, -v106
	v_add_f16_e32 v14, v17, v14
	v_fma_f16 v17, v51, s16, v107
	v_add_f16_e32 v16, v16, v19
	v_add_f16_e32 v15, v17, v15
	v_fma_f16 v17, v54, s16, -v108
	v_add_f16_e32 v16, v17, v16
	v_fma_f16 v17, v59, s17, v47
	v_add_f16_e32 v12, v17, v12
	v_fma_f16 v17, v40, s17, -v48
	v_add_f16_e32 v14, v17, v14
	v_fma_f16 v17, v59, s25, v109
	;; [unrolled: 4-line block ×6, first 2 shown]
	v_add_f16_e32 v15, v17, v15
	v_fma_f16 v17, v75, s19, -v114
	v_add_f16_e32 v16, v17, v16
	v_pack_b32_f16 v12, v12, v14
	v_pack_b32_f16 v14, v15, v16
	ds_write2_b32 v101, v14, v12 offset0:8 offset1:9
	v_pk_add_f16 v12, v1, v24 neg_lo:[0,1] neg_hi:[0,1]
	v_pk_add_f16 v16, v24, v1
	v_mul_f16_sdwa v38, v12, s12 dst_sel:DWORD dst_unused:UNUSED_PAD src0_sel:WORD_1 src1_sel:DWORD
	v_fma_f16 v14, v16, s14, v38
	v_add_f16_e32 v15, v14, v0
	v_pk_add_f16 v14, v2, v11 neg_lo:[0,1] neg_hi:[0,1]
	v_pk_add_f16 v17, v11, v2
	v_mul_f16_sdwa v39, v14, s26 dst_sel:DWORD dst_unused:UNUSED_PAD src0_sel:WORD_1 src1_sel:DWORD
	v_fma_f16 v18, v17, s16, v39
	v_lshrrev_b32_e32 v32, 16, v16
	v_mul_f16_e32 v42, 0xb770, v12
	v_add_f16_e32 v18, v18, v15
	v_fma_f16 v15, v32, s14, -v42
	v_lshrrev_b32_e32 v33, 16, v17
	v_mul_f16_e32 v44, 0xba95, v14
	v_add_f16_sdwa v15, v15, v0 dst_sel:DWORD dst_unused:UNUSED_PAD src0_sel:DWORD src1_sel:WORD_1
	v_fma_f16 v19, v33, s16, -v44
	v_add_f16_e32 v19, v19, v15
	v_pk_add_f16 v15, v3, v10 neg_lo:[0,1] neg_hi:[0,1]
	v_pk_add_f16 v22, v10, v3
	v_mul_f16_sdwa v41, v15, s27 dst_sel:DWORD dst_unused:UNUSED_PAD src0_sel:WORD_1 src1_sel:DWORD
	v_fma_f16 v25, v22, s17, v41
	v_lshrrev_b32_e32 v34, 16, v22
	v_mul_f16_e32 v46, 0xbbf1, v15
	v_add_f16_e32 v29, v25, v18
	v_fma_f16 v18, v34, s17, -v46
	v_fma_f16 v20, v26, s16, v20
	v_fma_f16 v26, v26, s25, v77
	v_add_f16_e32 v19, v18, v19
	v_pk_add_f16 v18, v4, v9 neg_lo:[0,1] neg_hi:[0,1]
	v_fma_f16 v28, v23, s19, -v28
	v_add_f16_e32 v26, v26, v118
	v_fma_f16 v23, v23, s25, -v78
	v_fma_f16 v52, v51, s17, v52
	v_fma_f16 v51, v51, s19, v79
	v_pk_add_f16 v25, v9, v4
	v_mul_f16_sdwa v43, v18, s18 dst_sel:DWORD dst_unused:UNUSED_PAD src0_sel:WORD_1 src1_sel:DWORD
	v_add_f16_e32 v20, v20, v115
	v_add_f16_e32 v23, v23, v119
	;; [unrolled: 1-line block ×3, first 2 shown]
	v_fma_f16 v51, v54, s19, -v80
	v_fma_f16 v30, v25, s19, v43
	v_lshrrev_b32_e32 v35, 16, v25
	v_mul_f16_e32 v48, 0xbb7b, v18
	v_add_f16_e32 v20, v52, v20
	v_add_f16_e32 v23, v51, v23
	v_fma_f16 v51, v59, s19, v60
	v_add_f16_e32 v29, v30, v29
	v_fma_f16 v30, v35, s19, -v48
	v_add_f16_e32 v28, v28, v117
	v_fma_f16 v52, v54, s25, -v55
	;; [unrolled: 2-line block ×3, first 2 shown]
	v_fma_f16 v40, v40, s14, -v82
	v_add_f16_e32 v31, v30, v19
	v_pk_add_f16 v19, v5, v8 neg_lo:[0,1] neg_hi:[0,1]
	v_add_f16_e32 v28, v52, v28
	v_add_f16_e32 v23, v40, v23
	v_fma_f16 v40, v64, s22, v65
	v_pk_add_f16 v30, v8, v5
	v_mul_f16_sdwa v45, v19, s20 dst_sel:DWORD dst_unused:UNUSED_PAD src0_sel:WORD_1 src1_sel:DWORD
	v_add_f16_e32 v28, v51, v28
	v_fma_f16 v51, v59, s14, v81
	v_add_f16_e32 v20, v40, v20
	v_fma_f16 v40, v68, s17, -v69
	v_add_f16_e32 v13, v13, v120
	v_fma_f16 v36, v30, s22, v45
	v_add_f16_e32 v26, v51, v26
	v_add_f16_e32 v28, v40, v28
	v_fma_f16 v40, v64, s16, v99
	v_add_f16_e32 v13, v21, v13
	v_fma_f16 v21, v75, s14, -v76
	v_add_f16_e32 v37, v36, v29
	v_lshrrev_b32_e32 v36, 16, v30
	v_mul_f16_e32 v49, 0xb94e, v19
	v_pk_add_f16 v27, v27, v116
	v_add_f16_e32 v26, v40, v26
	v_fma_f16 v51, v68, s16, -v100
	v_add_f16_e32 v21, v21, v28
	v_fma_f16 v28, v70, s22, v104
	v_fma_f16 v29, v36, s22, -v49
	v_pk_add_f16 v27, v53, v27
	v_add_f16_e32 v26, v28, v26
	v_pack_b32_f16 v28, v51, v73
	v_pk_mul_f16 v51, v71, s13
	v_add_f16_e32 v102, v29, v31
	v_pk_add_f16 v29, v6, v7 neg_lo:[0,1] neg_hi:[0,1]
	v_pk_add_f16 v27, v62, v27
	v_mul_f16_e32 v52, 0xb94e, v71
	v_bfi_b32 v23, s24, v23, v51
	v_pk_add_f16 v31, v7, v6
	v_mul_f16_sdwa v47, v29, s23 dst_sel:DWORD dst_unused:UNUSED_PAD src0_sel:WORD_1 src1_sel:DWORD
	v_pk_add_f16 v23, v28, v23
	v_bfi_b32 v28, s24, v52, v27
	v_fma_f16 v50, v31, s25, v47
	v_add_f16_e32 v13, v61, v13
	v_pk_add_f16 v28, v105, v28 neg_lo:[0,1] neg_hi:[0,1]
	v_pk_add_f16 v27, v67, v27
	v_add_f16_e32 v103, v50, v37
	v_lshrrev_b32_e32 v37, 16, v31
	v_mul_f16_e32 v50, 0xb3a8, v29
	v_fma_f16 v40, v70, s25, v72
	v_add_f16_e32 v13, v66, v13
	s_movk_i32 s21, 0x41
	v_bfi_b32 v27, s24, v28, v27
	v_fma_f16 v106, v37, s25, -v50
	v_add_f16_e32 v20, v40, v20
	v_add_f16_e32 v13, v74, v13
	v_add_co_u32_e32 v40, vcc, s21, v95
	v_pk_add_f16 v23, v27, v23
	v_add_f16_e32 v102, v106, v102
	v_alignbit_b32 v21, v21, v23, 16
	v_pack_b32_f16 v23, v26, v23
	v_pack_b32_f16 v13, v20, v13
	v_mul_u32_u24_e32 v100, 13, v40
	ds_write2_b32 v101, v23, v21 offset0:10 offset1:11
	ds_write_b32 v101, v13 offset:48
	s_and_saveexec_b64 s[12:13], s[0:1]
	s_cbranch_execz .LBB0_7
; %bb.6:
	v_mul_f16_e32 v60, 0xb94e, v12
	v_fma_f16 v61, v32, s22, v60
	v_mul_f16_e32 v62, 0x3bf1, v14
	v_add_f16_sdwa v61, v61, v0 dst_sel:DWORD dst_unused:UNUSED_PAD src0_sel:DWORD src1_sel:WORD_1
	v_fma_f16 v63, v33, s17, v62
	v_add_f16_e32 v61, v63, v61
	v_mul_f16_e32 v63, 0xba95, v15
	v_fma_f16 v64, v34, s16, v63
	v_add_f16_e32 v61, v64, v61
	v_mul_f16_e32 v64, 0x33a8, v18
	;; [unrolled: 3-line block ×4, first 2 shown]
	v_fma_f16 v67, v37, s19, v66
	v_add_f16_e32 v61, v67, v61
	v_mul_f16_sdwa v67, v12, s20 dst_sel:DWORD dst_unused:UNUSED_PAD src0_sel:WORD_1 src1_sel:DWORD
	v_fma_f16 v68, v16, s22, -v67
	v_mul_f16_sdwa v69, v14, s30 dst_sel:DWORD dst_unused:UNUSED_PAD src0_sel:WORD_1 src1_sel:DWORD
	v_add_f16_e32 v68, v68, v0
	v_fma_f16 v70, v17, s17, -v69
	v_add_f16_e32 v68, v70, v68
	v_mul_f16_sdwa v70, v15, s26 dst_sel:DWORD dst_unused:UNUSED_PAD src0_sel:WORD_1 src1_sel:DWORD
	v_fma_f16 v71, v22, s16, -v70
	v_add_f16_e32 v68, v71, v68
	v_mul_f16_sdwa v71, v18, s33 dst_sel:DWORD dst_unused:UNUSED_PAD src0_sel:WORD_1 src1_sel:DWORD
	;; [unrolled: 3-line block ×4, first 2 shown]
	v_fma_f16 v74, v31, s19, -v73
	v_add_f16_e32 v68, v74, v68
	v_mul_f16_e32 v74, 0xbb7b, v12
	v_fma_f16 v75, v32, s19, v74
	v_mul_f16_e32 v76, 0x394e, v14
	v_add_f16_sdwa v75, v75, v0 dst_sel:DWORD dst_unused:UNUSED_PAD src0_sel:DWORD src1_sel:WORD_1
	v_fma_f16 v77, v33, s22, v76
	v_add_f16_e32 v75, v77, v75
	v_mul_f16_e32 v77, 0x3770, v15
	v_fma_f16 v78, v34, s14, v77
	v_add_f16_e32 v75, v78, v75
	v_mul_f16_e32 v78, 0xbbf1, v18
	;; [unrolled: 3-line block ×3, first 2 shown]
	v_mul_f16_e32 v20, 0x3b15, v16
	v_fma_f16 v80, v36, s25, v79
	v_mul_f16_e32 v81, 0x388b, v37
	v_mul_f16_e32 v21, 0x3b15, v32
	;; [unrolled: 1-line block ×3, first 2 shown]
	v_add_f16_e32 v75, v80, v75
	v_fma_f16 v82, v29, s29, v81
	v_sub_f16_e32 v20, v20, v38
	v_mul_f16_e32 v26, 0x388b, v33
	v_mul_f16_e32 v27, 0x2fb7, v22
	v_add_f16_e32 v75, v82, v75
	v_mul_f16_sdwa v82, v12, s18 dst_sel:DWORD dst_unused:UNUSED_PAD src0_sel:WORD_1 src1_sel:DWORD
	v_add_f16_e32 v21, v42, v21
	v_add_f16_e32 v20, v20, v0
	v_sub_f16_e32 v23, v23, v39
	v_mul_f16_e32 v28, 0x2fb7, v34
	v_mul_f16_e32 v51, 0xb5ac, v25
	v_fma_f16 v99, v16, s19, -v82
	v_mul_f16_sdwa v104, v14, s31 dst_sel:DWORD dst_unused:UNUSED_PAD src0_sel:WORD_1 src1_sel:DWORD
	v_add_f16_sdwa v21, v21, v0 dst_sel:DWORD dst_unused:UNUSED_PAD src0_sel:DWORD src1_sel:WORD_1
	v_add_f16_e32 v26, v44, v26
	v_add_f16_e32 v20, v23, v20
	v_sub_f16_e32 v23, v27, v41
	v_mul_f16_e32 v52, 0xb5ac, v35
	v_mul_f16_e32 v53, 0xb9fd, v30
	v_add_f16_e32 v99, v99, v0
	v_fma_f16 v105, v17, s22, -v104
	v_add_f16_e32 v21, v26, v21
	v_add_f16_e32 v26, v46, v28
	v_add_f16_e32 v20, v23, v20
	v_sub_f16_e32 v23, v51, v43
	v_mul_f16_e32 v54, 0xb9fd, v36
	v_mul_f16_e32 v55, 0xbbc4, v31
	v_add_f16_e32 v99, v105, v99
	v_mul_f16_sdwa v105, v15, s28 dst_sel:DWORD dst_unused:UNUSED_PAD src0_sel:WORD_1 src1_sel:DWORD
	v_add_f16_e32 v21, v26, v21
	v_add_f16_e32 v26, v48, v52
	v_add_f16_e32 v20, v23, v20
	v_sub_f16_e32 v23, v53, v45
	v_mul_f16_e32 v59, 0xbbc4, v37
	v_fma_f16 v106, v22, s14, -v105
	v_add_f16_e32 v21, v26, v21
	v_add_f16_e32 v26, v49, v54
	;; [unrolled: 1-line block ×3, first 2 shown]
	v_sub_f16_e32 v23, v55, v47
	v_add_f16_e32 v99, v106, v99
	v_mul_f16_sdwa v106, v18, s27 dst_sel:DWORD dst_unused:UNUSED_PAD src0_sel:WORD_1 src1_sel:DWORD
	v_add_f16_e32 v21, v26, v21
	v_add_f16_e32 v26, v50, v59
	;; [unrolled: 1-line block ×3, first 2 shown]
	v_fma_f16 v23, v32, s22, -v60
	v_fma_f16 v107, v25, s17, -v106
	v_add_f16_e32 v21, v26, v21
	v_add_f16_sdwa v23, v23, v0 dst_sel:DWORD dst_unused:UNUSED_PAD src0_sel:DWORD src1_sel:WORD_1
	v_fma_f16 v26, v33, s17, -v62
	v_add_f16_e32 v99, v107, v99
	v_mul_f16_sdwa v107, v19, s33 dst_sel:DWORD dst_unused:UNUSED_PAD src0_sel:WORD_1 src1_sel:DWORD
	v_add_f16_e32 v23, v26, v23
	v_fma_f16 v26, v34, s16, -v63
	v_fma_f16 v108, v30, s25, -v107
	v_add_f16_e32 v23, v26, v23
	v_fma_f16 v26, v35, s25, -v64
	v_add_f16_e32 v99, v108, v99
	v_mul_f16_sdwa v108, v29, s29 dst_sel:DWORD dst_unused:UNUSED_PAD src0_sel:WORD_1 src1_sel:DWORD
	v_add_f16_e32 v23, v26, v23
	v_fma_f16 v26, v36, s14, -v65
	v_fma_f16 v109, v31, s16, -v108
	v_add_f16_e32 v23, v26, v23
	v_fma_f16 v26, v37, s19, -v66
	v_alignbit_b32 v13, v0, v0, 16
	v_add_f16_e32 v99, v109, v99
	v_mul_f16_e32 v109, 0xbbf1, v12
	v_add_f16_e32 v23, v26, v23
	v_fma_f16 v26, v16, s22, v67
	v_fma_f16 v110, v32, s17, v109
	v_mul_f16_e32 v111, 0xb3a8, v14
	v_mul_f16_sdwa v123, v12, s26 dst_sel:DWORD dst_unused:UNUSED_PAD src0_sel:WORD_1 src1_sel:DWORD
	v_pk_add_f16 v1, v1, v13 op_sel:[0,1] op_sel_hi:[1,0]
	v_add_f16_e32 v26, v26, v0
	v_fma_f16 v27, v17, s17, v69
	v_add_f16_sdwa v110, v110, v0 dst_sel:DWORD dst_unused:UNUSED_PAD src0_sel:DWORD src1_sel:WORD_1
	v_fma_f16 v112, v33, s25, v111
	v_fma_f16 v124, v16, s16, -v123
	v_mul_f16_sdwa v125, v14, s18 dst_sel:DWORD dst_unused:UNUSED_PAD src0_sel:WORD_1 src1_sel:DWORD
	v_add_f16_e32 v26, v27, v26
	v_fma_f16 v27, v22, s16, v70
	v_pk_add_f16 v1, v2, v1
	v_add_f16_e32 v110, v112, v110
	v_mul_f16_e32 v112, 0x3b7b, v15
	v_add_f16_e32 v124, v124, v0
	v_fma_f16 v126, v17, s19, -v125
	v_add_f16_e32 v26, v27, v26
	v_fma_f16 v27, v25, s25, v71
	v_pk_add_f16 v1, v3, v1
	v_fma_f16 v113, v34, s19, v112
	v_add_f16_e32 v124, v126, v124
	v_mul_f16_sdwa v126, v15, s23 dst_sel:DWORD dst_unused:UNUSED_PAD src0_sel:WORD_1 src1_sel:DWORD
	v_add_f16_e32 v26, v27, v26
	v_fma_f16 v27, v30, s14, v72
	v_pk_add_f16 v1, v4, v1
	v_add_f16_e32 v110, v113, v110
	v_mul_f16_e32 v113, 0x3770, v18
	v_fma_f16 v127, v22, s25, -v126
	v_add_f16_e32 v26, v27, v26
	v_fma_f16 v27, v31, s19, v73
	v_pk_add_f16 v1, v5, v1
	v_fma_f16 v114, v35, s14, v113
	v_add_f16_e32 v124, v127, v124
	v_mul_f16_sdwa v127, v18, s31 dst_sel:DWORD dst_unused:UNUSED_PAD src0_sel:WORD_1 src1_sel:DWORD
	v_add_f16_e32 v26, v27, v26
	v_fma_f16 v27, v32, s19, -v74
	v_fma_f16 v38, v16, s19, v82
	v_fma_f16 v32, v32, s17, -v109
	v_fma_f16 v48, v16, s16, v123
	v_pk_add_f16 v1, v6, v1
	v_add_f16_e32 v110, v114, v110
	v_mul_f16_e32 v114, 0xba95, v19
	v_fma_f16 v128, v25, s22, -v127
	v_add_f16_sdwa v27, v27, v0 dst_sel:DWORD dst_unused:UNUSED_PAD src0_sel:DWORD src1_sel:WORD_1
	v_fma_f16 v28, v33, s22, -v76
	v_add_f16_e32 v38, v38, v0
	v_add_f16_sdwa v32, v32, v0 dst_sel:DWORD dst_unused:UNUSED_PAD src0_sel:DWORD src1_sel:WORD_1
	v_fma_f16 v33, v33, s25, -v111
	v_add_f16_e32 v0, v48, v0
	v_fma_f16 v48, v17, s19, v125
	v_pk_add_f16 v1, v7, v1
	v_fma_f16 v115, v36, s16, v114
	v_add_f16_e32 v124, v128, v124
	v_mul_f16_sdwa v128, v19, s30 dst_sel:DWORD dst_unused:UNUSED_PAD src0_sel:WORD_1 src1_sel:DWORD
	v_add_f16_e32 v32, v33, v32
	v_fma_f16 v33, v34, s19, -v112
	v_add_f16_e32 v0, v48, v0
	v_fma_f16 v48, v22, s25, v126
	v_pk_add_f16 v1, v8, v1
	v_add_f16_e32 v110, v115, v110
	v_mul_f16_e32 v115, 0xb94e, v29
	v_fma_f16 v129, v30, s17, -v128
	v_add_f16_e32 v32, v33, v32
	v_fma_f16 v33, v35, s14, -v113
	v_add_f16_e32 v0, v48, v0
	v_fma_f16 v48, v25, s22, v127
	v_pk_add_f16 v1, v9, v1
	v_fma_f16 v116, v37, s22, v115
	s_mov_b32 s27, 0x388b2fb7
	v_add_f16_e32 v124, v129, v124
	v_mul_f16_sdwa v129, v29, s28 dst_sel:DWORD dst_unused:UNUSED_PAD src0_sel:WORD_1 src1_sel:DWORD
	v_add_f16_e32 v32, v33, v32
	v_fma_f16 v33, v36, s16, -v114
	v_add_f16_e32 v0, v48, v0
	v_fma_f16 v48, v30, s17, v128
	v_pk_add_f16 v1, v10, v1
	v_add_f16_e32 v110, v116, v110
	v_pk_mul_f16 v116, v16, s27
	s_mov_b32 s27, 0xbbf1ba95
	s_mov_b32 s33, 0xb5acbbc4
	v_fma_f16 v39, v17, s22, v104
	v_add_f16_e32 v32, v33, v32
	v_fma_f16 v33, v37, s22, -v115
	v_add_f16_e32 v0, v48, v0
	v_fma_f16 v48, v31, s14, v129
	v_pk_add_f16 v1, v11, v1
	v_pk_mul_f16 v117, v17, s33
	s_mov_b32 s33, 0xb3a8bb7b
	s_mov_b32 s34, 0xbbc4b5ac
	v_add_f16_e32 v27, v28, v27
	v_fma_f16 v28, v34, s14, -v77
	v_add_f16_e32 v38, v39, v38
	v_fma_f16 v39, v22, s14, v105
	v_add_f16_e32 v32, v33, v32
	v_pk_fma_f16 v33, v12, s27, v116 op_sel:[0,0,1] op_sel_hi:[1,1,0]
	v_pk_fma_f16 v41, v12, s27, v116 op_sel:[0,0,1] op_sel_hi:[1,1,0] neg_lo:[1,0,0] neg_hi:[1,0,0]
	v_add_f16_e32 v0, v48, v0
	v_lshl_add_u32 v48, v100, 2, v98
	v_pk_add_f16 v1, v24, v1
	v_pack_b32_f16 v2, v20, v21
	v_pk_mul_f16 v118, v22, s34
	s_mov_b32 s34, 0x3b7bb3a8
	s_mov_b32 s35, 0xb9fd3b15
	v_add_f16_e32 v27, v28, v27
	v_fma_f16 v28, v35, s17, -v78
	v_add_f16_e32 v38, v39, v38
	v_fma_f16 v39, v25, s17, v106
	v_pk_fma_f16 v35, v14, s33, v117 op_sel:[0,0,1] op_sel_hi:[1,1,0]
	v_pk_fma_f16 v42, v14, s33, v117 op_sel:[0,0,1] op_sel_hi:[1,1,0] neg_lo:[1,0,0] neg_hi:[1,0,0]
	ds_write2_b32 v48, v1, v2 offset1:1
	v_bfi_b32 v1, s24, v33, v41
	v_pk_mul_f16 v119, v25, s35
	s_mov_b32 s35, 0x3770394e
	s_mov_b32 s36, 0x2fb7388b
	v_add_f16_e32 v27, v28, v27
	v_fma_f16 v28, v36, s25, -v79
	v_add_f16_e32 v38, v39, v38
	v_fma_f16 v39, v30, s25, v107
	v_pk_fma_f16 v36, v15, s34, v118 op_sel:[0,0,1] op_sel_hi:[1,1,0]
	v_pk_fma_f16 v43, v15, s34, v118 op_sel:[0,0,1] op_sel_hi:[1,1,0] neg_lo:[1,0,0] neg_hi:[1,0,0]
	v_pk_add_f16 v1, v1, v13
	v_bfi_b32 v2, s24, v35, v42
	v_pk_mul_f16 v120, v30, s36
	s_mov_b32 s36, 0xba953bf1
	v_add_f16_e32 v38, v39, v38
	v_fma_f16 v39, v31, s16, v108
	v_pk_fma_f16 v37, v18, s35, v119 op_sel:[0,0,1] op_sel_hi:[1,1,0]
	v_pk_fma_f16 v44, v18, s35, v119 op_sel:[0,0,1] op_sel_hi:[1,1,0] neg_lo:[1,0,0] neg_hi:[1,0,0]
	v_pk_add_f16 v1, v2, v1
	v_bfi_b32 v2, s24, v36, v43
	s_mov_b32 s37, 0x3b15b9fd
	v_add_f16_e32 v38, v39, v38
	v_pk_fma_f16 v39, v19, s36, v120 op_sel:[0,0,1] op_sel_hi:[1,1,0]
	v_pk_fma_f16 v45, v19, s36, v120 op_sel:[0,0,1] op_sel_hi:[1,1,0] neg_lo:[1,0,0] neg_hi:[1,0,0]
	v_pk_add_f16 v1, v2, v1
	v_bfi_b32 v2, s24, v37, v44
	v_pk_mul_f16 v121, v31, s37
	s_mov_b32 s37, 0xb94e3770
	v_pk_add_f16 v1, v2, v1
	v_bfi_b32 v2, s24, v39, v45
	v_pk_fma_f16 v46, v29, s37, v121 op_sel:[0,0,1] op_sel_hi:[1,1,0] neg_lo:[1,0,0] neg_hi:[1,0,0]
	v_pk_add_f16 v1, v2, v1
	v_pk_fma_f16 v2, v29, s37, v121 op_sel:[0,0,1] op_sel_hi:[1,1,0]
	v_fma_f16 v130, v31, s14, -v129
	v_bfi_b32 v2, s24, v2, v46
	v_add_f16_e32 v124, v130, v124
	v_pk_add_f16 v1, v2, v1
	v_alignbit_b32 v2, v110, v1, 16
	v_pack_b32_f16 v1, v124, v1
	ds_write2_b32 v48, v1, v2 offset0:2 offset1:3
	v_pack_b32_f16 v1, v68, v61
	v_pack_b32_f16 v2, v99, v75
	ds_write2_b32 v48, v2, v1 offset0:4 offset1:5
	v_pk_mul_f16 v1, v16, s25 op_sel_hi:[1,0]
	v_pk_fma_f16 v2, v12, s23, v1 op_sel:[0,0,1] op_sel_hi:[1,0,0] neg_lo:[1,0,0] neg_hi:[1,0,0]
	v_pk_mul_f16 v3, v17, s14 op_sel_hi:[1,0]
	v_pk_add_f16 v2, v2, v13
	v_pk_fma_f16 v4, v14, s28, v3 op_sel:[0,0,1] op_sel_hi:[1,0,0] neg_lo:[1,0,0] neg_hi:[1,0,0]
	v_pk_add_f16 v2, v4, v2
	v_pk_mul_f16 v4, v22, s22 op_sel_hi:[1,0]
	v_pk_fma_f16 v5, v15, s20, v4 op_sel:[0,0,1] op_sel_hi:[1,0,0] neg_lo:[1,0,0] neg_hi:[1,0,0]
	v_pk_add_f16 v2, v5, v2
	v_pk_mul_f16 v5, v25, s16 op_sel_hi:[1,0]
	v_pk_fma_f16 v1, v12, s23, v1 op_sel:[0,0,1] op_sel_hi:[1,0,0]
	v_pk_fma_f16 v6, v18, s29, v5 op_sel:[0,0,1] op_sel_hi:[1,0,0] neg_lo:[1,0,0] neg_hi:[1,0,0]
	v_pk_add_f16 v1, v1, v13
	v_pk_fma_f16 v3, v14, s28, v3 op_sel:[0,0,1] op_sel_hi:[1,0,0]
	v_pk_add_f16 v2, v6, v2
	v_pk_mul_f16 v6, v30, s19 op_sel_hi:[1,0]
	v_pk_add_f16 v1, v3, v1
	v_pk_fma_f16 v3, v15, s20, v4 op_sel:[0,0,1] op_sel_hi:[1,0,0]
	v_pk_fma_f16 v7, v19, s18, v6 op_sel:[0,0,1] op_sel_hi:[1,0,0] neg_lo:[1,0,0] neg_hi:[1,0,0]
	v_pk_add_f16 v1, v3, v1
	v_pk_fma_f16 v3, v18, s29, v5 op_sel:[0,0,1] op_sel_hi:[1,0,0]
	v_pk_add_f16 v2, v7, v2
	v_pk_mul_f16 v7, v31, s17 op_sel_hi:[1,0]
	v_pk_add_f16 v1, v3, v1
	v_pk_fma_f16 v3, v19, s18, v6 op_sel:[0,0,1] op_sel_hi:[1,0,0]
	v_pk_add_f16 v34, v33, v13
	v_pk_fma_f16 v8, v29, s30, v7 op_sel:[0,0,1] op_sel_hi:[1,0,0] neg_lo:[1,0,0] neg_hi:[1,0,0]
	v_pk_add_f16 v1, v3, v1
	v_pk_fma_f16 v3, v29, s30, v7 op_sel:[0,0,1] op_sel_hi:[1,0,0]
	v_pk_add_f16 v34, v35, v34
	v_pk_add_f16 v2, v8, v2
	;; [unrolled: 1-line block ×4, first 2 shown]
	v_alignbit_b32 v3, v2, v1, 16
	v_alignbit_b32 v1, v1, v2, 16
	v_mul_f16_e32 v80, 0x3a95, v29
	v_pk_add_f16 v34, v37, v34
	ds_write2_b32 v48, v1, v3 offset0:6 offset1:7
	v_pack_b32_f16 v1, v26, v23
	v_add_f16_e32 v47, v41, v13
	ds_write_b32 v48, v1 offset:32
	v_bfi_b32 v1, s24, v80, v34
	v_pk_mul_f16 v122, v29, s37
	v_add_f16_e32 v47, v42, v47
	v_pk_add_f16 v1, v81, v1 neg_lo:[0,1] neg_hi:[0,1]
	v_pk_add_f16 v2, v39, v34
	v_add_f16_e32 v47, v43, v47
	v_bfi_b32 v1, s24, v1, v2
	v_pack_b32_f16 v2, v28, v121
	v_bfi_b32 v3, s24, v27, v122
	v_add_f16_e32 v47, v44, v47
	v_pk_add_f16 v2, v2, v3
	v_add_f16_e32 v47, v45, v47
	v_pk_add_f16 v1, v1, v2
	v_add_f16_e32 v47, v46, v47
	v_alignbit_b32 v2, v32, v1, 16
	v_pack_b32_f16 v1, v38, v1
	s_mov_b32 s14, 0x5040100
	ds_write2_b32 v48, v1, v2 offset0:9 offset1:10
	v_pack_b32_f16 v0, v0, v47
	v_perm_b32 v1, v102, v103, s14
	ds_write2_b32 v48, v0, v1 offset0:11 offset1:12
.LBB0_7:
	s_or_b64 exec, exec, s[12:13]
	s_movk_i32 s12, 0x4f
	v_mul_lo_u16_sdwa v0, v95, s12 dst_sel:DWORD dst_unused:UNUSED_PAD src0_sel:BYTE_0 src1_sel:DWORD
	v_lshrrev_b16_e32 v20, 10, v0
	v_mul_lo_u16_e32 v0, 13, v20
	v_sub_u16_e32 v39, v95, v0
	v_mov_b32_e32 v8, 4
	v_lshlrev_b32_sdwa v0, v8, v39 dst_sel:DWORD dst_unused:UNUSED_PAD src0_sel:DWORD src1_sel:BYTE_0
	s_waitcnt lgkmcnt(0)
	s_barrier
	global_load_dwordx4 v[0:3], v0, s[4:5]
	v_mul_lo_u16_sdwa v4, v40, s12 dst_sel:DWORD dst_unused:UNUSED_PAD src0_sel:BYTE_0 src1_sel:DWORD
	v_lshrrev_b16_e32 v47, 10, v4
	v_mul_lo_u16_e32 v4, 13, v47
	v_sub_u16_e32 v55, v40, v4
	v_lshlrev_b32_sdwa v4, v8, v55 dst_sel:DWORD dst_unused:UNUSED_PAD src0_sel:DWORD src1_sel:BYTE_0
	global_load_dwordx4 v[4:7], v4, s[4:5]
	s_movk_i32 s13, 0x82
	v_add_co_u32_e32 v44, vcc, s13, v95
	v_mul_lo_u16_sdwa v9, v44, s12 dst_sel:DWORD dst_unused:UNUSED_PAD src0_sel:BYTE_0 src1_sel:DWORD
	v_lshrrev_b16_e32 v67, 10, v9
	v_mul_lo_u16_e32 v9, 13, v67
	v_sub_u16_e32 v68, v44, v9
	v_lshlrev_b32_sdwa v8, v8, v68 dst_sel:DWORD dst_unused:UNUSED_PAD src0_sel:DWORD src1_sel:BYTE_0
	global_load_dwordx4 v[8:11], v8, s[4:5]
	s_movk_i32 s12, 0xc3
	v_add_co_u32_e32 v49, vcc, s12, v95
	s_movk_i32 s12, 0x4ec5
	v_mul_u32_u24_sdwa v12, v49, s12 dst_sel:DWORD dst_unused:UNUSED_PAD src0_sel:WORD_0 src1_sel:DWORD
	v_lshrrev_b32_e32 v70, 18, v12
	v_mul_lo_u16_e32 v12, 13, v70
	v_sub_u16_e32 v71, v49, v12
	v_lshlrev_b16_e32 v12, 2, v71
	v_add_u32_e32 v48, 0x400, v83
	v_add_u32_e32 v59, 0x800, v83
	;; [unrolled: 1-line block ×5, first 2 shown]
	v_lshlrev_b32_e32 v12, 2, v12
	ds_read2_b32 v[21:22], v83 offset1:65
	ds_read2_b32 v[23:24], v48 offset0:4 offset1:69
	ds_read2_b32 v[25:26], v59 offset0:138 offset1:203
	;; [unrolled: 1-line block ×8, first 2 shown]
	global_load_dwordx4 v[12:15], v12, s[4:5]
	s_movk_i32 s13, 0x104
	v_add_co_u32_e32 v54, vcc, s13, v95
	v_mul_u32_u24_sdwa v16, v54, s12 dst_sel:DWORD dst_unused:UNUSED_PAD src0_sel:WORD_0 src1_sel:DWORD
	v_lshrrev_b32_e32 v77, 18, v16
	v_mul_lo_u16_e32 v16, 13, v77
	v_sub_u16_e32 v78, v54, v16
	v_lshlrev_b16_e32 v16, 2, v78
	v_lshlrev_b32_e32 v16, 2, v16
	global_load_dwordx4 v[16:19], v16, s[4:5]
	s_waitcnt lgkmcnt(7)
	v_lshrrev_b32_e32 v61, 16, v24
	s_waitcnt lgkmcnt(6)
	v_lshrrev_b32_e32 v62, 16, v25
	;; [unrolled: 2-line block ×5, first 2 shown]
	v_lshrrev_b32_e32 v69, 16, v26
	s_waitcnt lgkmcnt(2)
	v_lshrrev_b32_e32 v72, 16, v33
	v_lshrrev_b32_e32 v73, 16, v30
	;; [unrolled: 1-line block ×3, first 2 shown]
	ds_read2_b32 v[41:42], v52 offset0:150 offset1:215
	s_waitcnt lgkmcnt(1)
	v_lshrrev_b32_e32 v76, 16, v37
	ds_read2_b32 v[45:46], v59 offset0:8 offset1:73
	v_lshrrev_b32_e32 v79, 16, v34
	ds_read2_b32 v[50:51], v60 offset0:146 offset1:211
	s_waitcnt lgkmcnt(2)
	v_lshrrev_b32_e32 v80, 16, v41
	v_lshrrev_b32_e32 v99, 16, v38
	s_waitcnt lgkmcnt(1)
	v_lshrrev_b32_e32 v82, 16, v45
	v_lshrrev_b32_e32 v105, 16, v42
	;; [unrolled: 3-line block ×3, first 2 shown]
	ds_read_b32 v106, v83 offset:6240
	v_lshrrev_b32_e32 v109, 16, v27
	v_lshrrev_b32_e32 v110, 16, v51
	s_movk_i32 s13, 0x3b9c
	s_mov_b32 s16, 0xbb9c
	s_waitcnt lgkmcnt(0)
	v_lshrrev_b32_e32 v111, 16, v106
	s_movk_i32 s12, 0x38b4
	s_mov_b32 s17, 0xb8b4
	s_movk_i32 s14, 0x34f2
	v_lshrrev_b32_e32 v43, 16, v21
	v_lshrrev_b32_e32 v65, 16, v22
	s_waitcnt vmcnt(4)
	v_mul_f16_sdwa v112, v61, v0 dst_sel:DWORD dst_unused:UNUSED_PAD src0_sel:DWORD src1_sel:WORD_1
	v_fma_f16 v112, v24, v0, -v112
	v_mul_f16_sdwa v24, v24, v0 dst_sel:DWORD dst_unused:UNUSED_PAD src0_sel:DWORD src1_sel:WORD_1
	v_fma_f16 v24, v61, v0, v24
	v_mul_f16_sdwa v61, v62, v1 dst_sel:DWORD dst_unused:UNUSED_PAD src0_sel:DWORD src1_sel:WORD_1
	v_fma_f16 v61, v25, v1, -v61
	v_mul_f16_sdwa v25, v25, v1 dst_sel:DWORD dst_unused:UNUSED_PAD src0_sel:DWORD src1_sel:WORD_1
	v_fma_f16 v25, v62, v1, v25
	v_mul_f16_sdwa v62, v63, v2 dst_sel:DWORD dst_unused:UNUSED_PAD src0_sel:DWORD src1_sel:WORD_1
	v_fma_f16 v62, v28, v2, -v62
	v_mul_f16_sdwa v28, v28, v2 dst_sel:DWORD dst_unused:UNUSED_PAD src0_sel:DWORD src1_sel:WORD_1
	v_fma_f16 v28, v63, v2, v28
	v_mul_f16_sdwa v63, v64, v3 dst_sel:DWORD dst_unused:UNUSED_PAD src0_sel:DWORD src1_sel:WORD_1
	v_fma_f16 v63, v29, v3, -v63
	v_mul_f16_sdwa v29, v29, v3 dst_sel:DWORD dst_unused:UNUSED_PAD src0_sel:DWORD src1_sel:WORD_1
	v_fma_f16 v29, v64, v3, v29
	s_waitcnt vmcnt(3)
	v_mul_f16_sdwa v64, v66, v4 dst_sel:DWORD dst_unused:UNUSED_PAD src0_sel:DWORD src1_sel:WORD_1
	v_fma_f16 v64, v31, v4, -v64
	v_mul_f16_sdwa v31, v31, v4 dst_sel:DWORD dst_unused:UNUSED_PAD src0_sel:DWORD src1_sel:WORD_1
	v_fma_f16 v31, v66, v4, v31
	v_mul_f16_sdwa v66, v69, v5 dst_sel:DWORD dst_unused:UNUSED_PAD src0_sel:DWORD src1_sel:WORD_1
	v_fma_f16 v66, v26, v5, -v66
	v_mul_f16_sdwa v26, v26, v5 dst_sel:DWORD dst_unused:UNUSED_PAD src0_sel:DWORD src1_sel:WORD_1
	v_fma_f16 v26, v69, v5, v26
	v_mul_f16_sdwa v69, v72, v6 dst_sel:DWORD dst_unused:UNUSED_PAD src0_sel:DWORD src1_sel:WORD_1
	v_fma_f16 v69, v33, v6, -v69
	v_mul_f16_sdwa v33, v33, v6 dst_sel:DWORD dst_unused:UNUSED_PAD src0_sel:DWORD src1_sel:WORD_1
	v_fma_f16 v33, v72, v6, v33
	v_mul_f16_sdwa v72, v73, v7 dst_sel:DWORD dst_unused:UNUSED_PAD src0_sel:DWORD src1_sel:WORD_1
	v_fma_f16 v72, v30, v7, -v72
	v_mul_f16_sdwa v30, v30, v7 dst_sel:DWORD dst_unused:UNUSED_PAD src0_sel:DWORD src1_sel:WORD_1
	v_fma_f16 v30, v73, v7, v30
	s_waitcnt vmcnt(2)
	v_mul_f16_sdwa v73, v75, v8 dst_sel:DWORD dst_unused:UNUSED_PAD src0_sel:DWORD src1_sel:WORD_1
	v_fma_f16 v73, v32, v8, -v73
	v_mul_f16_sdwa v32, v32, v8 dst_sel:DWORD dst_unused:UNUSED_PAD src0_sel:DWORD src1_sel:WORD_1
	v_fma_f16 v32, v75, v8, v32
	v_mul_f16_sdwa v75, v76, v9 dst_sel:DWORD dst_unused:UNUSED_PAD src0_sel:DWORD src1_sel:WORD_1
	v_fma_f16 v75, v37, v9, -v75
	v_mul_f16_sdwa v37, v37, v9 dst_sel:DWORD dst_unused:UNUSED_PAD src0_sel:DWORD src1_sel:WORD_1
	v_fma_f16 v37, v76, v9, v37
	v_mul_f16_sdwa v76, v79, v10 dst_sel:DWORD dst_unused:UNUSED_PAD src0_sel:DWORD src1_sel:WORD_1
	v_fma_f16 v76, v34, v10, -v76
	v_mul_f16_sdwa v34, v34, v10 dst_sel:DWORD dst_unused:UNUSED_PAD src0_sel:DWORD src1_sel:WORD_1
	v_fma_f16 v34, v79, v10, v34
	v_mul_f16_sdwa v79, v80, v11 dst_sel:DWORD dst_unused:UNUSED_PAD src0_sel:DWORD src1_sel:WORD_1
	v_fma_f16 v79, v41, v11, -v79
	v_mul_f16_sdwa v41, v41, v11 dst_sel:DWORD dst_unused:UNUSED_PAD src0_sel:DWORD src1_sel:WORD_1
	v_fma_f16 v41, v80, v11, v41
	s_waitcnt vmcnt(1)
	v_mul_f16_sdwa v80, v82, v12 dst_sel:DWORD dst_unused:UNUSED_PAD src0_sel:DWORD src1_sel:WORD_1
	v_fma_f16 v80, v45, v12, -v80
	v_mul_f16_sdwa v45, v45, v12 dst_sel:DWORD dst_unused:UNUSED_PAD src0_sel:DWORD src1_sel:WORD_1
	v_fma_f16 v45, v82, v12, v45
	v_mul_f16_sdwa v82, v99, v13 dst_sel:DWORD dst_unused:UNUSED_PAD src0_sel:DWORD src1_sel:WORD_1
	v_fma_f16 v82, v38, v13, -v82
	v_mul_f16_sdwa v38, v38, v13 dst_sel:DWORD dst_unused:UNUSED_PAD src0_sel:DWORD src1_sel:WORD_1
	v_fma_f16 v38, v99, v13, v38
	v_mul_f16_sdwa v99, v104, v14 dst_sel:DWORD dst_unused:UNUSED_PAD src0_sel:DWORD src1_sel:WORD_1
	v_fma_f16 v99, v50, v14, -v99
	v_mul_f16_sdwa v50, v50, v14 dst_sel:DWORD dst_unused:UNUSED_PAD src0_sel:DWORD src1_sel:WORD_1
	v_fma_f16 v50, v104, v14, v50
	v_mul_f16_sdwa v104, v105, v15 dst_sel:DWORD dst_unused:UNUSED_PAD src0_sel:DWORD src1_sel:WORD_1
	v_fma_f16 v104, v42, v15, -v104
	v_mul_f16_sdwa v42, v42, v15 dst_sel:DWORD dst_unused:UNUSED_PAD src0_sel:DWORD src1_sel:WORD_1
	v_fma_f16 v42, v105, v15, v42
	s_waitcnt vmcnt(0)
	v_mul_f16_sdwa v105, v108, v16 dst_sel:DWORD dst_unused:UNUSED_PAD src0_sel:DWORD src1_sel:WORD_1
	v_fma_f16 v105, v46, v16, -v105
	v_mul_f16_sdwa v46, v46, v16 dst_sel:DWORD dst_unused:UNUSED_PAD src0_sel:DWORD src1_sel:WORD_1
	v_fma_f16 v46, v108, v16, v46
	v_mul_f16_sdwa v108, v109, v17 dst_sel:DWORD dst_unused:UNUSED_PAD src0_sel:DWORD src1_sel:WORD_1
	v_fma_f16 v108, v27, v17, -v108
	v_mul_f16_sdwa v27, v27, v17 dst_sel:DWORD dst_unused:UNUSED_PAD src0_sel:DWORD src1_sel:WORD_1
	v_fma_f16 v27, v109, v17, v27
	v_mul_f16_sdwa v109, v110, v18 dst_sel:DWORD dst_unused:UNUSED_PAD src0_sel:DWORD src1_sel:WORD_1
	v_add_f16_e32 v113, v61, v62
	v_fma_f16 v109, v51, v18, -v109
	v_mul_f16_sdwa v51, v51, v18 dst_sel:DWORD dst_unused:UNUSED_PAD src0_sel:DWORD src1_sel:WORD_1
	v_fma_f16 v113, v113, -0.5, v21
	v_sub_f16_e32 v114, v24, v29
	v_fma_f16 v51, v110, v18, v51
	v_mul_f16_sdwa v110, v111, v19 dst_sel:DWORD dst_unused:UNUSED_PAD src0_sel:DWORD src1_sel:WORD_1
	v_fma_f16 v115, v114, s13, v113
	v_sub_f16_e32 v116, v25, v28
	v_sub_f16_e32 v117, v112, v61
	;; [unrolled: 1-line block ×3, first 2 shown]
	v_fma_f16 v113, v114, s16, v113
	v_fma_f16 v110, v106, v19, -v110
	v_mul_f16_sdwa v106, v106, v19 dst_sel:DWORD dst_unused:UNUSED_PAD src0_sel:DWORD src1_sel:WORD_1
	v_fma_f16 v115, v116, s12, v115
	v_add_f16_e32 v117, v117, v118
	v_fma_f16 v113, v116, s17, v113
	v_fma_f16 v106, v111, v19, v106
	v_add_f16_e32 v111, v21, v112
	v_fma_f16 v115, v117, s14, v115
	v_fma_f16 v113, v117, s14, v113
	v_add_f16_e32 v117, v112, v63
	v_add_f16_e32 v111, v111, v61
	v_fma_f16 v21, v117, -0.5, v21
	v_add_f16_e32 v111, v111, v62
	v_fma_f16 v117, v116, s16, v21
	v_fma_f16 v21, v116, s13, v21
	v_add_f16_e32 v116, v25, v28
	v_add_f16_e32 v111, v111, v63
	v_sub_f16_e32 v118, v61, v112
	v_sub_f16_e32 v119, v62, v63
	v_fma_f16 v116, v116, -0.5, v43
	v_sub_f16_e32 v63, v112, v63
	v_fma_f16 v117, v114, s12, v117
	v_add_f16_e32 v118, v118, v119
	v_fma_f16 v21, v114, s17, v21
	v_fma_f16 v112, v63, s16, v116
	v_sub_f16_e32 v61, v61, v62
	v_fma_f16 v117, v118, s14, v117
	v_fma_f16 v21, v118, s14, v21
	;; [unrolled: 1-line block ×3, first 2 shown]
	v_sub_f16_e32 v112, v24, v25
	v_sub_f16_e32 v118, v29, v28
	v_fma_f16 v116, v63, s13, v116
	v_add_f16_e32 v114, v43, v24
	v_add_f16_e32 v112, v112, v118
	v_fma_f16 v116, v61, s12, v116
	v_add_f16_e32 v114, v114, v25
	v_fma_f16 v62, v112, s14, v62
	v_fma_f16 v112, v112, s14, v116
	v_add_f16_e32 v116, v24, v29
	v_add_f16_e32 v114, v114, v28
	v_fma_f16 v43, v116, -0.5, v43
	v_add_f16_e32 v114, v114, v29
	v_fma_f16 v116, v61, s13, v43
	v_sub_f16_e32 v24, v25, v24
	v_sub_f16_e32 v25, v28, v29
	v_add_f16_e32 v29, v66, v69
	v_fma_f16 v116, v63, s17, v116
	v_add_f16_e32 v24, v24, v25
	v_fma_f16 v28, v61, s16, v43
	v_fma_f16 v29, v29, -0.5, v22
	v_sub_f16_e32 v43, v31, v30
	v_fma_f16 v25, v24, s14, v116
	v_fma_f16 v28, v63, s12, v28
	;; [unrolled: 1-line block ×3, first 2 shown]
	v_sub_f16_e32 v63, v26, v33
	v_sub_f16_e32 v116, v64, v66
	;; [unrolled: 1-line block ×3, first 2 shown]
	v_fma_f16 v29, v43, s16, v29
	v_fma_f16 v61, v63, s12, v61
	v_add_f16_e32 v116, v116, v118
	v_fma_f16 v29, v63, s17, v29
	v_fma_f16 v61, v116, s14, v61
	;; [unrolled: 1-line block ×3, first 2 shown]
	v_add_f16_e32 v116, v64, v72
	v_fma_f16 v24, v24, s14, v28
	v_add_f16_e32 v28, v22, v64
	v_fma_f16 v22, v116, -0.5, v22
	v_add_f16_e32 v28, v28, v66
	v_fma_f16 v116, v63, s16, v22
	v_fma_f16 v22, v63, s13, v22
	v_add_f16_e32 v63, v26, v33
	v_add_f16_e32 v28, v28, v69
	v_sub_f16_e32 v118, v66, v64
	v_sub_f16_e32 v119, v69, v72
	v_fma_f16 v63, v63, -0.5, v65
	v_sub_f16_e32 v64, v64, v72
	v_add_f16_e32 v28, v28, v72
	v_fma_f16 v116, v43, s12, v116
	v_add_f16_e32 v118, v118, v119
	v_fma_f16 v22, v43, s17, v22
	v_fma_f16 v72, v64, s16, v63
	v_sub_f16_e32 v66, v66, v69
	v_fma_f16 v116, v118, s14, v116
	v_fma_f16 v22, v118, s14, v22
	v_fma_f16 v69, v66, s17, v72
	v_sub_f16_e32 v72, v31, v26
	v_sub_f16_e32 v118, v30, v33
	v_fma_f16 v63, v64, s13, v63
	v_add_f16_e32 v43, v65, v31
	v_add_f16_e32 v72, v72, v118
	v_fma_f16 v63, v66, s12, v63
	v_add_f16_e32 v43, v43, v26
	v_fma_f16 v69, v72, s14, v69
	v_fma_f16 v63, v72, s14, v63
	v_add_f16_e32 v72, v31, v30
	v_add_f16_e32 v43, v43, v33
	v_fma_f16 v65, v72, -0.5, v65
	v_add_f16_e32 v43, v43, v30
	v_fma_f16 v72, v66, s13, v65
	v_sub_f16_e32 v26, v26, v31
	v_sub_f16_e32 v30, v33, v30
	v_fma_f16 v31, v66, s16, v65
	v_add_f16_e32 v33, v75, v76
	v_fma_f16 v72, v64, s17, v72
	v_add_f16_e32 v26, v26, v30
	v_fma_f16 v31, v64, s12, v31
	v_fma_f16 v33, v33, -0.5, v35
	v_sub_f16_e32 v64, v32, v41
	v_fma_f16 v30, v26, s14, v72
	v_fma_f16 v65, v64, s13, v33
	v_sub_f16_e32 v66, v37, v34
	v_sub_f16_e32 v72, v73, v75
	v_sub_f16_e32 v118, v79, v76
	v_fma_f16 v33, v64, s16, v33
	v_fma_f16 v65, v66, s12, v65
	v_add_f16_e32 v72, v72, v118
	v_fma_f16 v33, v66, s17, v33
	v_fma_f16 v65, v72, s14, v65
	v_fma_f16 v33, v72, s14, v33
	v_add_f16_e32 v72, v73, v79
	v_lshrrev_b32_e32 v74, 16, v35
	v_fma_f16 v26, v26, s14, v31
	v_add_f16_e32 v31, v35, v73
	v_fma_f16 v35, v72, -0.5, v35
	v_add_f16_e32 v31, v31, v75
	v_fma_f16 v72, v66, s16, v35
	v_fma_f16 v35, v66, s13, v35
	v_add_f16_e32 v66, v37, v34
	v_add_f16_e32 v31, v31, v76
	v_sub_f16_e32 v118, v75, v73
	v_sub_f16_e32 v119, v76, v79
	v_fma_f16 v66, v66, -0.5, v74
	v_sub_f16_e32 v73, v73, v79
	v_add_f16_e32 v31, v31, v79
	v_fma_f16 v72, v64, s12, v72
	v_add_f16_e32 v118, v118, v119
	v_fma_f16 v35, v64, s17, v35
	v_fma_f16 v79, v73, s16, v66
	v_sub_f16_e32 v75, v75, v76
	v_fma_f16 v72, v118, s14, v72
	v_fma_f16 v35, v118, s14, v35
	v_fma_f16 v76, v75, s17, v79
	v_sub_f16_e32 v79, v32, v37
	v_sub_f16_e32 v118, v41, v34
	v_fma_f16 v66, v73, s13, v66
	v_add_f16_e32 v64, v74, v32
	v_add_f16_e32 v79, v79, v118
	v_fma_f16 v66, v75, s12, v66
	v_add_f16_e32 v64, v64, v37
	v_fma_f16 v76, v79, s14, v76
	v_fma_f16 v66, v79, s14, v66
	v_add_f16_e32 v79, v32, v41
	v_add_f16_e32 v64, v64, v34
	v_fma_f16 v74, v79, -0.5, v74
	v_add_f16_e32 v64, v64, v41
	v_fma_f16 v79, v75, s13, v74
	v_sub_f16_e32 v32, v37, v32
	v_sub_f16_e32 v34, v34, v41
	v_fma_f16 v37, v75, s16, v74
	v_add_f16_e32 v41, v82, v99
	v_fma_f16 v79, v73, s17, v79
	v_add_f16_e32 v32, v32, v34
	v_fma_f16 v37, v73, s12, v37
	v_fma_f16 v41, v41, -0.5, v36
	v_sub_f16_e32 v73, v45, v42
	v_fma_f16 v34, v32, s14, v79
	v_fma_f16 v74, v73, s13, v41
	v_sub_f16_e32 v75, v38, v50
	v_sub_f16_e32 v79, v80, v82
	v_sub_f16_e32 v118, v104, v99
	v_fma_f16 v41, v73, s16, v41
	v_fma_f16 v74, v75, s12, v74
	v_add_f16_e32 v79, v79, v118
	v_fma_f16 v41, v75, s17, v41
	v_fma_f16 v74, v79, s14, v74
	v_fma_f16 v41, v79, s14, v41
	v_add_f16_e32 v79, v80, v104
	v_lshrrev_b32_e32 v81, 16, v36
	;; [unrolled: 57-line block ×3, first 2 shown]
	v_fma_f16 v38, v38, s14, v45
	v_add_f16_e32 v45, v23, v105
	v_fma_f16 v23, v104, -0.5, v23
	v_fma_f16 v104, v82, s16, v23
	v_sub_f16_e32 v118, v108, v105
	v_sub_f16_e32 v119, v109, v110
	v_add_f16_e32 v45, v45, v108
	v_fma_f16 v104, v80, s12, v104
	v_add_f16_e32 v118, v118, v119
	v_fma_f16 v23, v82, s13, v23
	v_add_f16_e32 v82, v27, v51
	v_add_f16_e32 v45, v45, v109
	v_fma_f16 v119, v118, s14, v104
	v_fma_f16 v82, v82, -0.5, v107
	v_sub_f16_e32 v104, v105, v110
	v_add_f16_e32 v45, v45, v110
	v_fma_f16 v105, v104, s16, v82
	v_sub_f16_e32 v108, v108, v109
	v_sub_f16_e32 v109, v46, v27
	;; [unrolled: 1-line block ×3, first 2 shown]
	v_fma_f16 v105, v108, s17, v105
	v_add_f16_e32 v109, v109, v110
	v_fma_f16 v23, v80, s17, v23
	v_add_f16_e32 v80, v107, v46
	;; [unrolled: 2-line block ×3, first 2 shown]
	v_add_f16_e32 v80, v80, v27
	v_fma_f16 v105, v105, -0.5, v107
	v_mul_u32_u24_e32 v20, 0x41, v20
	v_add_f16_e32 v80, v80, v51
	v_fma_f16 v107, v108, s13, v105
	v_sub_f16_e32 v27, v27, v46
	v_sub_f16_e32 v46, v51, v106
	v_fma_f16 v51, v108, s16, v105
	v_add_u32_sdwa v20, v20, v39 dst_sel:DWORD dst_unused:UNUSED_PAD src0_sel:DWORD src1_sel:BYTE_0
	v_fma_f16 v82, v104, s13, v82
	v_fma_f16 v107, v104, s17, v107
	;; [unrolled: 1-line block ×3, first 2 shown]
	v_lshl_add_u32 v104, v20, 2, v98
	v_pack_b32_f16 v20, v111, v114
	v_pack_b32_f16 v39, v115, v62
	s_barrier
	ds_write2_b32 v104, v20, v39 offset1:13
	v_pack_b32_f16 v20, v117, v25
	v_pack_b32_f16 v21, v21, v24
	ds_write2_b32 v104, v20, v21 offset0:26 offset1:39
	v_pack_b32_f16 v20, v113, v112
	ds_write_b32 v104, v20 offset:208
	v_mul_u32_u24_e32 v20, 0x41, v47
	v_add_u32_sdwa v20, v20, v55 dst_sel:DWORD dst_unused:UNUSED_PAD src0_sel:DWORD src1_sel:BYTE_0
	v_lshl_add_u32 v105, v20, 2, v98
	v_pack_b32_f16 v20, v28, v43
	v_pack_b32_f16 v21, v61, v69
	ds_write2_b32 v105, v20, v21 offset1:13
	v_pack_b32_f16 v20, v116, v30
	v_pack_b32_f16 v21, v22, v26
	ds_write2_b32 v105, v20, v21 offset0:26 offset1:39
	v_pack_b32_f16 v20, v29, v63
	ds_write_b32 v105, v20 offset:208
	v_mul_u32_u24_e32 v20, 0x41, v67
	v_add_u32_sdwa v20, v20, v68 dst_sel:DWORD dst_unused:UNUSED_PAD src0_sel:DWORD src1_sel:BYTE_0
	v_add_f16_e32 v80, v80, v106
	v_lshl_add_u32 v106, v20, 2, v98
	v_pack_b32_f16 v20, v31, v64
	v_pack_b32_f16 v21, v65, v76
	ds_write2_b32 v106, v20, v21 offset1:13
	v_pack_b32_f16 v20, v72, v34
	v_pack_b32_f16 v21, v35, v32
	ds_write2_b32 v106, v20, v21 offset0:26 offset1:39
	v_pack_b32_f16 v20, v33, v66
	v_add_f16_e32 v27, v27, v46
	ds_write_b32 v106, v20 offset:208
	v_mad_legacy_u16 v20, v70, s21, v71
	v_fma_f16 v46, v27, s14, v107
	v_lshl_add_u32 v107, v20, 2, v98
	v_pack_b32_f16 v20, v37, v73
	v_pack_b32_f16 v21, v74, v99
	ds_write2_b32 v107, v20, v21 offset1:13
	v_pack_b32_f16 v20, v79, v42
	v_pack_b32_f16 v21, v36, v38
	ds_write2_b32 v107, v20, v21 offset0:26 offset1:39
	v_pack_b32_f16 v20, v41, v75
	ds_write_b32 v107, v20 offset:208
	v_mad_legacy_u16 v20, v77, s21, v78
	v_fma_f16 v23, v118, s14, v23
	v_fma_f16 v82, v108, s12, v82
	;; [unrolled: 1-line block ×3, first 2 shown]
	v_lshl_add_u32 v108, v20, 2, v98
	v_pack_b32_f16 v20, v45, v80
	v_pack_b32_f16 v21, v81, v110
	v_fma_f16 v82, v109, s14, v82
	ds_write2_b32 v108, v20, v21 offset1:13
	v_pack_b32_f16 v20, v119, v46
	v_pack_b32_f16 v21, v23, v27
	ds_write2_b32 v108, v20, v21 offset0:26 offset1:39
	v_pack_b32_f16 v20, v50, v82
	v_lshlrev_b32_e32 v36, 4, v95
	ds_write_b32 v108, v20 offset:208
	s_waitcnt lgkmcnt(0)
	s_barrier
	global_load_dwordx4 v[20:23], v36, s[4:5] offset:208
	s_movk_i32 s18, 0xfd
	v_mul_lo_u16_sdwa v24, v44, s18 dst_sel:DWORD dst_unused:UNUSED_PAD src0_sel:BYTE_0 src1_sel:DWORD
	v_lshrrev_b16_e32 v24, 14, v24
	v_mul_lo_u16_e32 v24, 0x41, v24
	v_sub_u16_e32 v24, v44, v24
	v_and_b32_e32 v80, 0xff, v24
	v_lshlrev_b32_e32 v24, 4, v80
	ds_read2_b32 v[37:38], v83 offset1:65
	ds_read2_b32 v[41:42], v48 offset0:4 offset1:69
	ds_read2_b32 v[45:46], v59 offset0:138 offset1:203
	;; [unrolled: 1-line block ×4, first 2 shown]
	global_load_dwordx4 v[24:27], v24, s[4:5] offset:208
	s_movk_i32 s18, 0xfc1
	v_mul_u32_u24_sdwa v28, v49, s18 dst_sel:DWORD dst_unused:UNUSED_PAD src0_sel:WORD_0 src1_sel:DWORD
	v_lshrrev_b32_e32 v28, 18, v28
	v_mul_lo_u16_e32 v28, 0x41, v28
	v_sub_u16_e32 v82, v49, v28
	v_lshlrev_b16_e32 v28, 4, v82
	v_mov_b32_e32 v33, s5
	v_add_co_u32_e32 v28, vcc, s4, v28
	v_addc_co_u32_e32 v29, vcc, 0, v33, vcc
	ds_read2_b32 v[63:64], v48 offset0:134 offset1:199
	ds_read2_b32 v[65:66], v60 offset0:16 offset1:81
	ds_read2_b32 v[67:68], v83 offset0:130 offset1:195
	ds_read2_b32 v[69:70], v53 offset0:12 offset1:77
	global_load_dwordx4 v[28:31], v[28:29], off offset:208
	v_mul_u32_u24_sdwa v32, v54, s18 dst_sel:DWORD dst_unused:UNUSED_PAD src0_sel:WORD_0 src1_sel:DWORD
	v_lshrrev_b32_e32 v32, 18, v32
	v_mul_lo_u16_e32 v32, 0x41, v32
	v_sub_u16_e32 v113, v54, v32
	v_lshlrev_b16_e32 v32, 4, v113
	v_add_co_u32_e32 v32, vcc, s4, v32
	v_addc_co_u32_e32 v33, vcc, 0, v33, vcc
	global_load_dwordx4 v[32:35], v[32:33], off offset:208
	s_waitcnt lgkmcnt(7)
	v_lshrrev_b32_e32 v43, 16, v42
	s_waitcnt lgkmcnt(6)
	v_lshrrev_b32_e32 v47, 16, v45
	s_waitcnt lgkmcnt(5)
	v_lshrrev_b32_e32 v55, 16, v51
	s_waitcnt lgkmcnt(4)
	v_lshrrev_b32_e32 v77, 16, v61
	s_waitcnt lgkmcnt(3)
	v_lshrrev_b32_e32 v79, 16, v63
	v_lshrrev_b32_e32 v81, 16, v46
	s_waitcnt lgkmcnt(2)
	v_lshrrev_b32_e32 v99, 16, v65
	v_lshrrev_b32_e32 v109, 16, v62
	v_lshrrev_b32_e32 v111, 16, v64
	ds_read2_b32 v[71:72], v52 offset0:150 offset1:215
	s_waitcnt lgkmcnt(1)
	v_lshrrev_b32_e32 v112, 16, v69
	ds_read2_b32 v[73:74], v59 offset0:8 offset1:73
	v_lshrrev_b32_e32 v114, 16, v66
	ds_read2_b32 v[75:76], v60 offset0:146 offset1:211
	s_waitcnt lgkmcnt(2)
	v_lshrrev_b32_e32 v115, 16, v71
	v_lshrrev_b32_e32 v118, 16, v70
	s_waitcnt lgkmcnt(1)
	v_lshrrev_b32_e32 v117, 16, v73
	v_lshrrev_b32_e32 v120, 16, v72
	;; [unrolled: 3-line block ×3, first 2 shown]
	ds_read_b32 v121, v83 offset:6240
	v_lshrrev_b32_e32 v124, 16, v50
	v_lshrrev_b32_e32 v125, 16, v76
	;; [unrolled: 1-line block ×4, first 2 shown]
	s_waitcnt lgkmcnt(0)
	v_lshrrev_b32_e32 v126, 16, v121
	v_lshrrev_b32_e32 v110, 16, v67
	;; [unrolled: 1-line block ×4, first 2 shown]
	s_waitcnt vmcnt(0)
	s_barrier
	v_lshlrev_b32_e32 v40, 4, v40
	v_lshlrev_b32_e32 v44, 4, v44
	v_mul_f16_sdwa v127, v43, v20 dst_sel:DWORD dst_unused:UNUSED_PAD src0_sel:DWORD src1_sel:WORD_1
	v_fma_f16 v127, v42, v20, -v127
	v_mul_f16_sdwa v42, v42, v20 dst_sel:DWORD dst_unused:UNUSED_PAD src0_sel:DWORD src1_sel:WORD_1
	v_fma_f16 v42, v43, v20, v42
	v_mul_f16_sdwa v43, v47, v21 dst_sel:DWORD dst_unused:UNUSED_PAD src0_sel:DWORD src1_sel:WORD_1
	v_fma_f16 v43, v45, v21, -v43
	v_mul_f16_sdwa v45, v45, v21 dst_sel:DWORD dst_unused:UNUSED_PAD src0_sel:DWORD src1_sel:WORD_1
	v_fma_f16 v45, v47, v21, v45
	;; [unrolled: 4-line block ×18, first 2 shown]
	v_mul_f16_sdwa v124, v125, v34 dst_sel:DWORD dst_unused:UNUSED_PAD src0_sel:DWORD src1_sel:WORD_1
	v_add_f16_e32 v128, v43, v47
	v_fma_f16 v124, v76, v34, -v124
	v_mul_f16_sdwa v76, v76, v34 dst_sel:DWORD dst_unused:UNUSED_PAD src0_sel:DWORD src1_sel:WORD_1
	v_fma_f16 v128, v128, -0.5, v37
	v_sub_f16_e32 v129, v42, v61
	v_fma_f16 v76, v125, v34, v76
	v_mul_f16_sdwa v125, v126, v35 dst_sel:DWORD dst_unused:UNUSED_PAD src0_sel:DWORD src1_sel:WORD_1
	v_fma_f16 v130, v129, s13, v128
	v_sub_f16_e32 v131, v45, v51
	v_sub_f16_e32 v132, v127, v43
	;; [unrolled: 1-line block ×3, first 2 shown]
	v_fma_f16 v128, v129, s16, v128
	v_fma_f16 v125, v121, v35, -v125
	v_mul_f16_sdwa v121, v121, v35 dst_sel:DWORD dst_unused:UNUSED_PAD src0_sel:DWORD src1_sel:WORD_1
	v_fma_f16 v130, v131, s12, v130
	v_add_f16_e32 v132, v132, v133
	v_fma_f16 v128, v131, s17, v128
	v_fma_f16 v121, v126, v35, v121
	v_add_f16_e32 v126, v37, v127
	v_fma_f16 v130, v132, s14, v130
	v_fma_f16 v128, v132, s14, v128
	v_add_f16_e32 v132, v127, v55
	v_add_f16_e32 v126, v126, v43
	v_fma_f16 v37, v132, -0.5, v37
	v_add_f16_e32 v126, v126, v47
	v_fma_f16 v132, v131, s16, v37
	v_fma_f16 v37, v131, s13, v37
	v_add_f16_e32 v131, v45, v51
	v_add_f16_e32 v126, v126, v55
	v_sub_f16_e32 v133, v43, v127
	v_sub_f16_e32 v134, v47, v55
	v_fma_f16 v131, v131, -0.5, v39
	v_sub_f16_e32 v55, v127, v55
	v_fma_f16 v132, v129, s12, v132
	v_add_f16_e32 v133, v133, v134
	v_fma_f16 v37, v129, s17, v37
	v_fma_f16 v127, v55, s16, v131
	v_sub_f16_e32 v43, v43, v47
	v_fma_f16 v132, v133, s14, v132
	v_fma_f16 v37, v133, s14, v37
	;; [unrolled: 1-line block ×3, first 2 shown]
	v_sub_f16_e32 v127, v42, v45
	v_sub_f16_e32 v133, v61, v51
	v_fma_f16 v131, v55, s13, v131
	v_add_f16_e32 v127, v127, v133
	v_fma_f16 v131, v43, s12, v131
	v_fma_f16 v47, v127, s14, v47
	v_fma_f16 v127, v127, s14, v131
	v_add_f16_e32 v131, v42, v61
	v_add_f16_e32 v129, v39, v42
	v_fma_f16 v39, v131, -0.5, v39
	v_add_f16_e32 v129, v129, v45
	v_fma_f16 v131, v43, s13, v39
	v_sub_f16_e32 v42, v45, v42
	v_sub_f16_e32 v45, v51, v61
	v_fma_f16 v39, v43, s16, v39
	v_add_f16_e32 v43, v79, v81
	v_add_f16_e32 v129, v129, v51
	v_fma_f16 v131, v55, s17, v131
	v_add_f16_e32 v42, v42, v45
	v_fma_f16 v43, v43, -0.5, v38
	v_sub_f16_e32 v51, v63, v62
	v_add_f16_e32 v129, v129, v61
	v_fma_f16 v45, v42, s14, v131
	v_fma_f16 v39, v55, s12, v39
	v_fma_f16 v55, v51, s13, v43
	v_sub_f16_e32 v61, v46, v65
	v_sub_f16_e32 v131, v77, v79
	;; [unrolled: 1-line block ×3, first 2 shown]
	v_fma_f16 v43, v51, s16, v43
	v_fma_f16 v55, v61, s12, v55
	v_add_f16_e32 v131, v131, v133
	v_fma_f16 v43, v61, s17, v43
	v_fma_f16 v55, v131, s14, v55
	;; [unrolled: 1-line block ×3, first 2 shown]
	v_add_f16_e32 v131, v77, v99
	v_fma_f16 v39, v42, s14, v39
	v_add_f16_e32 v42, v38, v77
	v_fma_f16 v38, v131, -0.5, v38
	v_add_f16_e32 v42, v42, v79
	v_fma_f16 v131, v61, s16, v38
	v_fma_f16 v38, v61, s13, v38
	v_add_f16_e32 v61, v46, v65
	v_add_f16_e32 v42, v42, v81
	v_sub_f16_e32 v133, v79, v77
	v_sub_f16_e32 v134, v81, v99
	v_fma_f16 v61, v61, -0.5, v78
	v_sub_f16_e32 v77, v77, v99
	v_add_f16_e32 v42, v42, v99
	v_fma_f16 v131, v51, s12, v131
	v_add_f16_e32 v133, v133, v134
	v_fma_f16 v38, v51, s17, v38
	v_fma_f16 v99, v77, s16, v61
	v_sub_f16_e32 v79, v79, v81
	v_fma_f16 v131, v133, s14, v131
	v_fma_f16 v38, v133, s14, v38
	;; [unrolled: 1-line block ×3, first 2 shown]
	v_sub_f16_e32 v99, v63, v46
	v_sub_f16_e32 v133, v62, v65
	v_fma_f16 v61, v77, s13, v61
	v_add_f16_e32 v51, v78, v63
	v_add_f16_e32 v99, v99, v133
	v_fma_f16 v61, v79, s12, v61
	v_add_f16_e32 v51, v51, v46
	v_fma_f16 v81, v99, s14, v81
	v_fma_f16 v61, v99, s14, v61
	v_add_f16_e32 v99, v63, v62
	v_add_f16_e32 v51, v51, v65
	v_fma_f16 v78, v99, -0.5, v78
	v_add_f16_e32 v51, v51, v62
	v_fma_f16 v99, v79, s13, v78
	v_sub_f16_e32 v46, v46, v63
	v_sub_f16_e32 v62, v65, v62
	v_fma_f16 v63, v79, s16, v78
	v_add_f16_e32 v65, v111, v112
	v_fma_f16 v99, v77, s17, v99
	v_add_f16_e32 v46, v46, v62
	v_fma_f16 v63, v77, s12, v63
	v_fma_f16 v65, v65, -0.5, v67
	v_sub_f16_e32 v77, v64, v71
	v_fma_f16 v62, v46, s14, v99
	v_fma_f16 v78, v77, s13, v65
	v_sub_f16_e32 v79, v69, v66
	v_sub_f16_e32 v99, v109, v111
	;; [unrolled: 1-line block ×3, first 2 shown]
	v_fma_f16 v65, v77, s16, v65
	v_fma_f16 v78, v79, s12, v78
	v_add_f16_e32 v99, v99, v133
	v_fma_f16 v65, v79, s17, v65
	v_fma_f16 v78, v99, s14, v78
	;; [unrolled: 1-line block ×3, first 2 shown]
	v_add_f16_e32 v99, v109, v114
	v_fma_f16 v46, v46, s14, v63
	v_add_f16_e32 v63, v67, v109
	v_fma_f16 v67, v99, -0.5, v67
	v_add_f16_e32 v63, v63, v111
	v_fma_f16 v99, v79, s16, v67
	v_fma_f16 v67, v79, s13, v67
	v_add_f16_e32 v79, v69, v66
	v_add_f16_e32 v63, v63, v112
	v_sub_f16_e32 v133, v111, v109
	v_sub_f16_e32 v134, v112, v114
	v_fma_f16 v79, v79, -0.5, v110
	v_sub_f16_e32 v109, v109, v114
	v_add_f16_e32 v63, v63, v114
	v_fma_f16 v99, v77, s12, v99
	v_add_f16_e32 v133, v133, v134
	v_fma_f16 v67, v77, s17, v67
	v_fma_f16 v114, v109, s16, v79
	v_sub_f16_e32 v111, v111, v112
	v_fma_f16 v99, v133, s14, v99
	v_fma_f16 v67, v133, s14, v67
	v_fma_f16 v112, v111, s17, v114
	v_sub_f16_e32 v114, v64, v69
	v_sub_f16_e32 v133, v71, v66
	v_fma_f16 v79, v109, s13, v79
	v_add_f16_e32 v77, v110, v64
	v_add_f16_e32 v114, v114, v133
	v_fma_f16 v79, v111, s12, v79
	v_add_f16_e32 v77, v77, v69
	v_fma_f16 v112, v114, s14, v112
	v_fma_f16 v79, v114, s14, v79
	v_add_f16_e32 v114, v64, v71
	v_add_f16_e32 v77, v77, v66
	v_fma_f16 v110, v114, -0.5, v110
	v_add_f16_e32 v77, v77, v71
	v_fma_f16 v114, v111, s13, v110
	v_sub_f16_e32 v64, v69, v64
	v_sub_f16_e32 v66, v66, v71
	v_fma_f16 v69, v111, s16, v110
	v_add_f16_e32 v71, v117, v118
	v_fma_f16 v114, v109, s17, v114
	v_add_f16_e32 v64, v64, v66
	v_fma_f16 v69, v109, s12, v69
	v_fma_f16 v71, v71, -0.5, v68
	v_sub_f16_e32 v109, v73, v72
	v_fma_f16 v66, v64, s14, v114
	v_fma_f16 v110, v109, s13, v71
	v_sub_f16_e32 v111, v70, v75
	v_sub_f16_e32 v114, v115, v117
	;; [unrolled: 1-line block ×3, first 2 shown]
	v_fma_f16 v110, v111, s12, v110
	v_add_f16_e32 v114, v114, v133
	v_fma_f16 v133, v114, s14, v110
	v_add_f16_e32 v110, v115, v119
	v_fma_f16 v64, v64, s14, v69
	v_add_f16_e32 v69, v68, v115
	v_fma_f16 v68, v110, -0.5, v68
	v_fma_f16 v110, v111, s16, v68
	v_fma_f16 v68, v111, s13, v68
	;; [unrolled: 1-line block ×5, first 2 shown]
	v_add_f16_e32 v109, v116, v73
	v_fma_f16 v71, v111, s17, v71
	v_add_f16_e32 v109, v109, v70
	v_fma_f16 v71, v114, s14, v71
	v_sub_f16_e32 v114, v117, v115
	v_sub_f16_e32 v134, v118, v119
	v_add_f16_e32 v109, v109, v75
	v_add_f16_e32 v114, v114, v134
	;; [unrolled: 1-line block ×5, first 2 shown]
	v_fma_f16 v134, v114, s14, v110
	v_fma_f16 v109, v109, -0.5, v116
	v_sub_f16_e32 v110, v115, v119
	v_add_f16_e32 v69, v69, v118
	v_fma_f16 v68, v114, s14, v68
	v_fma_f16 v114, v110, s16, v109
	v_sub_f16_e32 v115, v117, v118
	v_sub_f16_e32 v117, v73, v70
	;; [unrolled: 1-line block ×3, first 2 shown]
	v_fma_f16 v109, v110, s13, v109
	v_fma_f16 v114, v115, s17, v114
	v_add_f16_e32 v117, v117, v118
	v_fma_f16 v109, v115, s12, v109
	v_fma_f16 v114, v117, s14, v114
	;; [unrolled: 1-line block ×3, first 2 shown]
	v_add_f16_e32 v109, v73, v72
	v_fma_f16 v109, v109, -0.5, v116
	v_fma_f16 v116, v115, s13, v109
	v_sub_f16_e32 v70, v70, v73
	v_sub_f16_e32 v72, v75, v72
	v_add_f16_e32 v75, v123, v124
	v_fma_f16 v116, v110, s17, v116
	v_add_f16_e32 v70, v70, v72
	v_fma_f16 v73, v115, s16, v109
	v_fma_f16 v75, v75, -0.5, v41
	v_sub_f16_e32 v109, v74, v121
	v_fma_f16 v72, v70, s14, v116
	v_fma_f16 v73, v110, s12, v73
	;; [unrolled: 1-line block ×3, first 2 shown]
	v_sub_f16_e32 v115, v50, v76
	v_sub_f16_e32 v116, v120, v123
	v_sub_f16_e32 v118, v125, v124
	v_fma_f16 v110, v115, s12, v110
	v_add_f16_e32 v116, v116, v118
	v_fma_f16 v118, v116, s14, v110
	v_add_f16_e32 v110, v120, v125
	v_fma_f16 v70, v70, s14, v73
	v_add_f16_e32 v73, v41, v120
	v_fma_f16 v41, v110, -0.5, v41
	v_fma_f16 v110, v115, s16, v41
	v_fma_f16 v41, v115, s13, v41
	;; [unrolled: 1-line block ×5, first 2 shown]
	v_add_f16_e32 v109, v122, v74
	v_fma_f16 v75, v115, s17, v75
	v_add_f16_e32 v109, v109, v50
	v_add_f16_e32 v69, v69, v119
	v_fma_f16 v75, v116, s14, v75
	v_sub_f16_e32 v116, v123, v120
	v_sub_f16_e32 v119, v124, v125
	v_add_f16_e32 v109, v109, v76
	v_add_f16_e32 v116, v116, v119
	;; [unrolled: 1-line block ×5, first 2 shown]
	v_fma_f16 v119, v116, s14, v110
	v_fma_f16 v109, v109, -0.5, v122
	v_sub_f16_e32 v110, v120, v125
	v_add_f16_e32 v73, v73, v124
	v_fma_f16 v41, v116, s14, v41
	v_fma_f16 v116, v110, s16, v109
	v_sub_f16_e32 v120, v123, v124
	v_sub_f16_e32 v123, v74, v50
	;; [unrolled: 1-line block ×3, first 2 shown]
	v_fma_f16 v109, v110, s13, v109
	v_fma_f16 v116, v120, s17, v116
	v_add_f16_e32 v123, v123, v124
	v_fma_f16 v109, v120, s12, v109
	v_fma_f16 v116, v123, s14, v116
	;; [unrolled: 1-line block ×3, first 2 shown]
	v_add_f16_e32 v109, v74, v121
	v_pack_b32_f16 v45, v132, v45
	v_pack_b32_f16 v37, v37, v39
	v_fma_f16 v109, v109, -0.5, v122
	ds_write2_b32 v83, v45, v37 offset0:130 offset1:195
	v_pack_b32_f16 v37, v128, v127
	v_pack_b32_f16 v39, v42, v51
	v_fma_f16 v122, v120, s13, v109
	v_sub_f16_e32 v50, v50, v74
	v_sub_f16_e32 v74, v76, v121
	v_fma_f16 v76, v120, s16, v109
	ds_write2_b32 v48, v37, v39 offset0:4 offset1:69
	v_pack_b32_f16 v37, v55, v81
	v_pack_b32_f16 v39, v131, v62
	v_fma_f16 v122, v110, s17, v122
	v_add_f16_e32 v50, v50, v74
	v_fma_f16 v76, v110, s12, v76
	ds_write2_b32 v48, v37, v39 offset0:134 offset1:199
	v_pack_b32_f16 v37, v38, v46
	v_pack_b32_f16 v38, v43, v61
	v_lshl_add_u32 v109, v80, 2, v98
	v_fma_f16 v74, v50, s14, v122
	v_fma_f16 v50, v50, s14, v76
	v_pack_b32_f16 v76, v126, v129
	v_pack_b32_f16 v47, v130, v47
	ds_write2_b32 v59, v37, v38 offset0:8 offset1:73
	v_pack_b32_f16 v37, v63, v77
	v_pack_b32_f16 v38, v78, v112
	v_add_u32_e32 v39, 0x800, v109
	ds_write2_b32 v83, v76, v47 offset1:65
	ds_write2_b32 v39, v37, v38 offset0:138 offset1:203
	v_pack_b32_f16 v37, v99, v66
	v_pack_b32_f16 v38, v67, v64
	v_add_u32_e32 v39, 0xc00, v109
	ds_write2_b32 v39, v37, v38 offset0:12 offset1:77
	v_pack_b32_f16 v37, v65, v79
	v_lshl_add_u32 v110, v82, 2, v98
	ds_write_b32 v109, v37 offset:3640
	v_pack_b32_f16 v37, v69, v111
	v_pack_b32_f16 v38, v133, v114
	v_add_u32_e32 v39, 0xe00, v110
	ds_write2_b32 v39, v37, v38 offset0:79 offset1:144
	v_pack_b32_f16 v37, v134, v72
	v_pack_b32_f16 v38, v68, v70
	v_add_u32_e32 v39, 0x1000, v110
	v_add_f16_e32 v73, v73, v125
	ds_write2_b32 v39, v37, v38 offset0:81 offset1:146
	v_pack_b32_f16 v37, v71, v117
	v_lshl_add_u32 v111, v113, 2, v98
	ds_write_b32 v110, v37 offset:4940
	v_pack_b32_f16 v37, v73, v115
	v_pack_b32_f16 v38, v118, v116
	v_add_u32_e32 v39, 0x1400, v111
	ds_write2_b32 v39, v37, v38 offset0:20 offset1:85
	v_pack_b32_f16 v37, v119, v74
	v_pack_b32_f16 v38, v41, v50
	ds_write2_b32 v39, v37, v38 offset0:150 offset1:215
	v_pack_b32_f16 v37, v75, v123
	ds_write_b32 v111, v37 offset:6240
	s_waitcnt lgkmcnt(0)
	s_barrier
	global_load_dwordx4 v[36:39], v36, s[4:5] offset:1248
	v_mov_b32_e32 v50, s15
	global_load_dwordx4 v[40:43], v40, s[4:5] offset:1248
	v_addc_co_u32_e64 v73, vcc, 0, v50, s[2:3]
	global_load_dwordx4 v[44:47], v44, s[4:5] offset:1248
	ds_read2_b32 v[61:62], v83 offset1:65
	ds_read2_b32 v[68:69], v48 offset0:4 offset1:69
	ds_read2_b32 v[63:64], v59 offset0:138 offset1:203
	ds_read2_b32 v[65:66], v53 offset0:142 offset1:207
	ds_read2_b32 v[70:71], v52 offset0:20 offset1:85
	ds_read2_b32 v[74:75], v48 offset0:134 offset1:199
	v_lshlrev_b32_e32 v48, 4, v49
	global_load_dwordx4 v[48:51], v48, s[4:5] offset:1248
	ds_read2_b32 v[112:113], v52 offset0:150 offset1:215
	v_lshlrev_b32_e32 v52, 4, v54
	ds_read2_b32 v[80:81], v53 offset0:12 offset1:77
	global_load_dwordx4 v[52:55], v52, s[4:5] offset:1248
	s_waitcnt lgkmcnt(6)
	v_lshrrev_b32_e32 v72, 16, v69
	s_waitcnt lgkmcnt(5)
	v_lshrrev_b32_e32 v82, 16, v63
	;; [unrolled: 2-line block ×4, first 2 shown]
	ds_read2_b32 v[76:77], v60 offset0:16 offset1:81
	s_waitcnt lgkmcnt(3)
	v_lshrrev_b32_e32 v118, 16, v74
	v_lshrrev_b32_e32 v119, 16, v64
	;; [unrolled: 1-line block ×4, first 2 shown]
	s_waitcnt lgkmcnt(0)
	v_lshrrev_b32_e32 v120, 16, v76
	v_lshrrev_b32_e32 v124, 16, v80
	ds_read2_b32 v[114:115], v59 offset0:8 offset1:73
	v_lshrrev_b32_e32 v125, 16, v77
	v_lshrrev_b32_e32 v126, 16, v112
	ds_read2_b32 v[59:60], v60 offset0:146 offset1:211
	v_lshrrev_b32_e32 v129, 16, v81
	s_waitcnt lgkmcnt(1)
	v_lshrrev_b32_e32 v128, 16, v114
	v_lshrrev_b32_e32 v131, 16, v113
	;; [unrolled: 1-line block ×3, first 2 shown]
	s_waitcnt lgkmcnt(0)
	v_lshrrev_b32_e32 v130, 16, v59
	ds_read_b32 v132, v83 offset:6240
	v_lshrrev_b32_e32 v135, 16, v65
	v_lshrrev_b32_e32 v136, 16, v60
	;; [unrolled: 1-line block ×4, first 2 shown]
	s_waitcnt lgkmcnt(0)
	v_lshrrev_b32_e32 v137, 16, v132
	ds_read2_b32 v[78:79], v83 offset0:130 offset1:195
	v_lshrrev_b32_e32 v133, 16, v68
	s_movk_i32 s15, 0x1000
	s_movk_i32 s2, 0x1964
	s_waitcnt lgkmcnt(0)
	v_lshrrev_b32_e32 v122, 16, v78
	v_lshrrev_b32_e32 v127, 16, v79
	s_waitcnt vmcnt(4)
	v_mul_f16_sdwa v138, v72, v36 dst_sel:DWORD dst_unused:UNUSED_PAD src0_sel:DWORD src1_sel:WORD_1
	v_fma_f16 v138, v69, v36, -v138
	v_mul_f16_sdwa v69, v69, v36 dst_sel:DWORD dst_unused:UNUSED_PAD src0_sel:DWORD src1_sel:WORD_1
	v_fma_f16 v69, v72, v36, v69
	v_mul_f16_sdwa v72, v82, v37 dst_sel:DWORD dst_unused:UNUSED_PAD src0_sel:DWORD src1_sel:WORD_1
	v_fma_f16 v72, v63, v37, -v72
	v_mul_f16_sdwa v63, v63, v37 dst_sel:DWORD dst_unused:UNUSED_PAD src0_sel:DWORD src1_sel:WORD_1
	v_fma_f16 v63, v82, v37, v63
	v_mul_f16_sdwa v82, v99, v38 dst_sel:DWORD dst_unused:UNUSED_PAD src0_sel:DWORD src1_sel:WORD_1
	v_fma_f16 v82, v66, v38, -v82
	v_mul_f16_sdwa v66, v66, v38 dst_sel:DWORD dst_unused:UNUSED_PAD src0_sel:DWORD src1_sel:WORD_1
	v_fma_f16 v66, v99, v38, v66
	v_mul_f16_sdwa v99, v116, v39 dst_sel:DWORD dst_unused:UNUSED_PAD src0_sel:DWORD src1_sel:WORD_1
	v_fma_f16 v99, v70, v39, -v99
	v_mul_f16_sdwa v70, v70, v39 dst_sel:DWORD dst_unused:UNUSED_PAD src0_sel:DWORD src1_sel:WORD_1
	v_fma_f16 v70, v116, v39, v70
	s_waitcnt vmcnt(3)
	v_mul_f16_sdwa v116, v118, v40 dst_sel:DWORD dst_unused:UNUSED_PAD src0_sel:DWORD src1_sel:WORD_1
	v_fma_f16 v116, v74, v40, -v116
	v_mul_f16_sdwa v74, v74, v40 dst_sel:DWORD dst_unused:UNUSED_PAD src0_sel:DWORD src1_sel:WORD_1
	v_fma_f16 v74, v118, v40, v74
	v_mul_f16_sdwa v118, v119, v41 dst_sel:DWORD dst_unused:UNUSED_PAD src0_sel:DWORD src1_sel:WORD_1
	v_fma_f16 v118, v64, v41, -v118
	v_mul_f16_sdwa v64, v64, v41 dst_sel:DWORD dst_unused:UNUSED_PAD src0_sel:DWORD src1_sel:WORD_1
	v_fma_f16 v64, v119, v41, v64
	v_mul_f16_sdwa v119, v120, v42 dst_sel:DWORD dst_unused:UNUSED_PAD src0_sel:DWORD src1_sel:WORD_1
	v_fma_f16 v119, v76, v42, -v119
	v_mul_f16_sdwa v76, v76, v42 dst_sel:DWORD dst_unused:UNUSED_PAD src0_sel:DWORD src1_sel:WORD_1
	v_fma_f16 v76, v120, v42, v76
	v_mul_f16_sdwa v120, v121, v43 dst_sel:DWORD dst_unused:UNUSED_PAD src0_sel:DWORD src1_sel:WORD_1
	v_fma_f16 v120, v71, v43, -v120
	v_mul_f16_sdwa v71, v71, v43 dst_sel:DWORD dst_unused:UNUSED_PAD src0_sel:DWORD src1_sel:WORD_1
	v_fma_f16 v71, v121, v43, v71
	;; [unrolled: 17-line block ×5, first 2 shown]
	v_add_f16_e32 v59, v61, v138
	v_add_f16_e32 v59, v59, v72
	;; [unrolled: 1-line block ×5, first 2 shown]
	v_fma_f16 v59, v59, -0.5, v61
	v_sub_f16_e32 v60, v69, v70
	v_fma_f16 v65, v60, s13, v59
	v_sub_f16_e32 v115, v63, v66
	v_sub_f16_e32 v143, v138, v72
	;; [unrolled: 1-line block ×3, first 2 shown]
	v_fma_f16 v59, v60, s16, v59
	v_fma_f16 v65, v115, s12, v65
	v_add_f16_e32 v143, v143, v144
	v_fma_f16 v59, v115, s17, v59
	v_fma_f16 v144, v143, s14, v65
	;; [unrolled: 1-line block ×3, first 2 shown]
	v_add_f16_e32 v59, v138, v99
	v_fma_f16 v59, v59, -0.5, v61
	v_fma_f16 v61, v115, s16, v59
	v_sub_f16_e32 v65, v72, v138
	v_sub_f16_e32 v145, v82, v99
	v_fma_f16 v59, v115, s13, v59
	v_add_f16_e32 v65, v65, v145
	v_fma_f16 v59, v60, s17, v59
	v_fma_f16 v146, v65, s14, v59
	v_add_f16_e32 v59, v67, v69
	v_add_f16_e32 v59, v59, v63
	;; [unrolled: 1-line block ×5, first 2 shown]
	v_fma_f16 v61, v60, s12, v61
	v_fma_f16 v59, v59, -0.5, v67
	v_sub_f16_e32 v60, v138, v99
	v_fma_f16 v145, v65, s14, v61
	v_fma_f16 v61, v60, s16, v59
	v_sub_f16_e32 v65, v72, v82
	v_sub_f16_e32 v72, v69, v63
	;; [unrolled: 1-line block ×3, first 2 shown]
	v_fma_f16 v59, v60, s13, v59
	v_fma_f16 v61, v65, s17, v61
	v_add_f16_e32 v72, v72, v82
	v_fma_f16 v59, v65, s12, v59
	v_fma_f16 v82, v72, s14, v61
	;; [unrolled: 1-line block ×3, first 2 shown]
	v_add_f16_e32 v59, v69, v70
	v_fma_f16 v59, v59, -0.5, v67
	v_fma_f16 v61, v65, s13, v59
	v_sub_f16_e32 v63, v63, v69
	v_sub_f16_e32 v66, v66, v70
	v_fma_f16 v59, v65, s16, v59
	v_add_f16_e32 v63, v63, v66
	v_fma_f16 v59, v60, s12, v59
	v_fma_f16 v148, v63, s14, v59
	v_add_f16_e32 v59, v62, v116
	v_add_f16_e32 v59, v59, v118
	;; [unrolled: 1-line block ×5, first 2 shown]
	v_fma_f16 v61, v60, s17, v61
	v_fma_f16 v59, v59, -0.5, v62
	v_sub_f16_e32 v60, v74, v71
	v_fma_f16 v138, v63, s14, v61
	v_fma_f16 v61, v60, s13, v59
	v_sub_f16_e32 v63, v64, v76
	v_sub_f16_e32 v65, v116, v118
	;; [unrolled: 1-line block ×3, first 2 shown]
	v_fma_f16 v59, v60, s16, v59
	v_add_f16_e32 v65, v65, v66
	v_fma_f16 v59, v63, s17, v59
	v_fma_f16 v151, v65, s14, v59
	v_add_f16_e32 v59, v116, v120
	v_fma_f16 v61, v63, s12, v61
	v_fma_f16 v59, v59, -0.5, v62
	v_fma_f16 v150, v65, s14, v61
	v_fma_f16 v61, v63, s16, v59
	v_sub_f16_e32 v62, v118, v116
	v_sub_f16_e32 v65, v119, v120
	v_fma_f16 v59, v63, s13, v59
	v_add_f16_e32 v62, v62, v65
	v_fma_f16 v59, v60, s17, v59
	v_fma_f16 v153, v62, s14, v59
	v_add_f16_e32 v59, v117, v74
	v_add_f16_e32 v59, v59, v64
	v_add_f16_e32 v59, v59, v76
	v_add_f16_e32 v154, v59, v71
	v_add_f16_e32 v59, v64, v76
	v_fma_f16 v61, v60, s12, v61
	v_fma_f16 v59, v59, -0.5, v117
	v_sub_f16_e32 v60, v116, v120
	v_fma_f16 v152, v62, s14, v61
	v_fma_f16 v61, v60, s16, v59
	v_sub_f16_e32 v62, v118, v119
	v_sub_f16_e32 v63, v74, v64
	;; [unrolled: 1-line block ×3, first 2 shown]
	v_fma_f16 v59, v60, s13, v59
	v_add_f16_e32 v63, v63, v65
	v_fma_f16 v59, v62, s12, v59
	v_fma_f16 v156, v63, s14, v59
	v_add_f16_e32 v59, v74, v71
	v_fma_f16 v61, v62, s17, v61
	v_fma_f16 v59, v59, -0.5, v117
	v_fma_f16 v155, v63, s14, v61
	v_fma_f16 v61, v62, s13, v59
	v_sub_f16_e32 v63, v64, v74
	v_sub_f16_e32 v64, v76, v71
	v_fma_f16 v59, v62, s16, v59
	v_add_f16_e32 v63, v63, v64
	v_fma_f16 v59, v60, s12, v59
	v_fma_f16 v74, v63, s14, v59
	v_add_f16_e32 v59, v78, v121
	v_add_f16_e32 v59, v59, v123
	;; [unrolled: 1-line block ×3, first 2 shown]
	v_fma_f16 v61, v60, s17, v61
	v_add_f16_e32 v76, v59, v125
	v_add_f16_e32 v59, v123, v124
	v_fma_f16 v71, v63, s14, v61
	v_fma_f16 v59, v59, -0.5, v78
	v_sub_f16_e32 v61, v75, v112
	v_fma_f16 v60, v61, s13, v59
	v_sub_f16_e32 v62, v80, v77
	v_sub_f16_e32 v63, v121, v123
	;; [unrolled: 1-line block ×3, first 2 shown]
	v_fma_f16 v59, v61, s16, v59
	v_fma_f16 v60, v62, s12, v60
	v_add_f16_e32 v63, v63, v64
	v_fma_f16 v59, v62, s17, v59
	v_fma_f16 v157, v63, s14, v60
	;; [unrolled: 1-line block ×3, first 2 shown]
	v_add_f16_e32 v59, v121, v125
	v_fma_f16 v59, v59, -0.5, v78
	v_fma_f16 v63, v62, s16, v59
	v_fma_f16 v59, v62, s13, v59
	;; [unrolled: 1-line block ×4, first 2 shown]
	v_add_f16_e32 v61, v122, v75
	v_add_f16_e32 v61, v61, v80
	v_add_f16_e32 v61, v61, v77
	v_sub_f16_e32 v64, v123, v121
	v_sub_f16_e32 v65, v124, v125
	v_add_f16_e32 v158, v61, v112
	v_add_f16_e32 v61, v80, v77
	;; [unrolled: 1-line block ×3, first 2 shown]
	v_fma_f16 v61, v61, -0.5, v122
	v_sub_f16_e32 v62, v121, v125
	v_fma_f16 v78, v64, s14, v63
	v_fma_f16 v59, v64, s14, v59
	;; [unrolled: 1-line block ×3, first 2 shown]
	v_sub_f16_e32 v64, v123, v124
	v_sub_f16_e32 v65, v75, v80
	;; [unrolled: 1-line block ×3, first 2 shown]
	v_fma_f16 v61, v62, s13, v61
	v_add_f16_e32 v65, v65, v66
	v_fma_f16 v61, v64, s12, v61
	v_fma_f16 v116, v65, s14, v61
	v_add_f16_e32 v61, v75, v112
	v_fma_f16 v63, v64, s17, v63
	v_fma_f16 v61, v61, -0.5, v122
	v_fma_f16 v159, v65, s14, v63
	v_fma_f16 v63, v64, s13, v61
	v_sub_f16_e32 v65, v80, v75
	v_sub_f16_e32 v66, v77, v112
	v_fma_f16 v61, v64, s16, v61
	v_fma_f16 v63, v62, s17, v63
	v_add_f16_e32 v65, v65, v66
	v_fma_f16 v61, v62, s12, v61
	v_add_f16_e32 v62, v128, v129
	v_fma_f16 v75, v65, s14, v63
	v_fma_f16 v63, v62, -0.5, v79
	v_sub_f16_e32 v64, v114, v113
	v_fma_f16 v115, v65, s14, v61
	v_fma_f16 v62, v64, s13, v63
	v_sub_f16_e32 v66, v81, v130
	v_sub_f16_e32 v65, v126, v128
	;; [unrolled: 1-line block ×3, first 2 shown]
	v_fma_f16 v63, v64, s16, v63
	v_fma_f16 v62, v66, s12, v62
	v_add_f16_e32 v65, v65, v67
	v_fma_f16 v63, v66, s17, v63
	v_fma_f16 v62, v65, s14, v62
	;; [unrolled: 1-line block ×3, first 2 shown]
	v_add_f16_e32 v65, v126, v139
	v_fma_f16 v67, v65, -0.5, v79
	v_fma_f16 v65, v66, s16, v67
	v_sub_f16_e32 v69, v128, v126
	v_sub_f16_e32 v70, v129, v139
	v_fma_f16 v66, v66, s13, v67
	v_fma_f16 v65, v64, s12, v65
	v_add_f16_e32 v69, v69, v70
	v_fma_f16 v64, v64, s17, v66
	v_fma_f16 v66, v69, s14, v64
	v_add_f16_e32 v64, v127, v114
	v_add_f16_e32 v64, v64, v81
	;; [unrolled: 1-line block ×5, first 2 shown]
	v_fma_f16 v64, v64, -0.5, v127
	v_sub_f16_e32 v67, v126, v139
	v_add_f16_e32 v61, v79, v126
	v_fma_f16 v65, v69, s14, v65
	v_fma_f16 v69, v67, s16, v64
	v_sub_f16_e32 v70, v128, v129
	v_sub_f16_e32 v77, v114, v81
	;; [unrolled: 1-line block ×3, first 2 shown]
	v_fma_f16 v64, v67, s13, v64
	v_add_f16_e32 v77, v77, v79
	v_fma_f16 v64, v70, s12, v64
	v_fma_f16 v119, v77, s14, v64
	v_add_f16_e32 v64, v114, v113
	v_fma_f16 v69, v70, s17, v69
	v_fma_f16 v64, v64, -0.5, v127
	v_fma_f16 v118, v77, s14, v69
	v_fma_f16 v69, v70, s13, v64
	v_sub_f16_e32 v77, v81, v114
	v_sub_f16_e32 v79, v130, v113
	v_fma_f16 v64, v70, s16, v64
	v_fma_f16 v69, v67, s17, v69
	v_add_f16_e32 v77, v77, v79
	v_fma_f16 v64, v67, s12, v64
	v_add_f16_e32 v67, v140, v141
	v_fma_f16 v120, v77, s14, v69
	v_fma_f16 v121, v77, s14, v64
	v_fma_f16 v69, v67, -0.5, v68
	v_sub_f16_e32 v77, v134, v132
	v_fma_f16 v67, v77, s13, v69
	v_sub_f16_e32 v79, v135, v136
	v_sub_f16_e32 v70, v131, v140
	;; [unrolled: 1-line block ×3, first 2 shown]
	v_fma_f16 v69, v77, s16, v69
	v_fma_f16 v67, v79, s12, v67
	v_add_f16_e32 v70, v70, v80
	v_fma_f16 v69, v79, s17, v69
	v_fma_f16 v67, v70, s14, v67
	;; [unrolled: 1-line block ×3, first 2 shown]
	v_add_f16_e32 v69, v131, v142
	v_fma_f16 v69, v69, -0.5, v68
	v_add_f16_e32 v64, v68, v131
	v_fma_f16 v68, v79, s16, v69
	v_fma_f16 v69, v79, s13, v69
	;; [unrolled: 1-line block ×4, first 2 shown]
	v_add_f16_e32 v77, v133, v134
	v_add_f16_e32 v77, v77, v135
	;; [unrolled: 1-line block ×3, first 2 shown]
	v_sub_f16_e32 v80, v140, v131
	v_sub_f16_e32 v81, v141, v142
	v_add_f16_e32 v122, v77, v132
	v_add_f16_e32 v77, v135, v136
	;; [unrolled: 1-line block ×3, first 2 shown]
	v_fma_f16 v77, v77, -0.5, v133
	v_sub_f16_e32 v79, v131, v142
	v_fma_f16 v68, v80, s14, v68
	v_fma_f16 v69, v80, s14, v69
	;; [unrolled: 1-line block ×3, first 2 shown]
	v_sub_f16_e32 v81, v140, v141
	v_sub_f16_e32 v99, v134, v135
	;; [unrolled: 1-line block ×3, first 2 shown]
	v_fma_f16 v77, v79, s13, v77
	v_add_f16_e32 v99, v99, v112
	v_fma_f16 v77, v81, s12, v77
	v_fma_f16 v124, v99, s14, v77
	v_add_f16_e32 v77, v134, v132
	v_fma_f16 v80, v81, s17, v80
	v_fma_f16 v77, v77, -0.5, v133
	v_fma_f16 v123, v99, s14, v80
	v_fma_f16 v80, v81, s13, v77
	v_sub_f16_e32 v99, v135, v134
	v_sub_f16_e32 v112, v136, v132
	v_fma_f16 v77, v81, s16, v77
	v_fma_f16 v80, v79, s17, v80
	v_add_f16_e32 v99, v99, v112
	v_fma_f16 v77, v79, s12, v77
	v_fma_f16 v125, v99, s14, v80
	;; [unrolled: 1-line block ×3, first 2 shown]
	v_pack_b32_f16 v77, v137, v147
	v_lshl_add_u32 v99, v95, 2, v98
	ds_write_b32 v83, v77
	v_pack_b32_f16 v77, v144, v82
	v_pack_b32_f16 v82, v150, v155
	v_add_u32_e32 v112, 0x400, v99
	v_pack_b32_f16 v79, v145, v138
	ds_write2_b32 v112, v77, v82 offset0:69 offset1:134
	v_pack_b32_f16 v71, v152, v71
	v_add_u32_e32 v77, 0x800, v99
	v_pack_b32_f16 v80, v146, v148
	ds_write2_b32 v77, v79, v71 offset0:138 offset1:203
	;; [unrolled: 4-line block ×4, first 2 shown]
	v_pack_b32_f16 v71, v76, v158
	ds_write2_b32 v99, v81, v71 offset0:65 offset1:130
	v_pack_b32_f16 v71, v157, v159
	v_add_f16_e32 v61, v61, v128
	ds_write_b32 v83, v71 offset:1820
	v_pack_b32_f16 v71, v78, v75
	v_add_f16_e32 v61, v61, v129
	ds_write_b32 v83, v71 offset:3120
	;; [unrolled: 3-line block ×3, first 2 shown]
	v_pack_b32_f16 v71, v60, v116
	ds_write_b32 v83, v71 offset:5720
	v_pack_b32_f16 v71, v61, v117
	ds_write_b32 v99, v71 offset:780
	v_pack_b32_f16 v71, v62, v118
	v_add_f16_e32 v64, v64, v140
	ds_write_b32 v83, v71 offset:2080
	v_pack_b32_f16 v71, v65, v120
	v_add_f16_e32 v64, v64, v141
	;; [unrolled: 3-line block ×3, first 2 shown]
	ds_write_b32 v83, v71 offset:4680
	v_pack_b32_f16 v71, v63, v119
	ds_write_b32 v83, v71 offset:5980
	v_pack_b32_f16 v71, v64, v122
	;; [unrolled: 2-line block ×6, first 2 shown]
	ds_write_b32 v83, v71 offset:6240
	v_add_co_u32_e32 v71, vcc, s15, v56
	v_addc_co_u32_e32 v72, vcc, 0, v73, vcc
	s_waitcnt lgkmcnt(0)
	s_barrier
	global_load_dword v80, v[71:72], off offset:2404
	v_add_co_u32_e32 v71, vcc, s2, v56
	v_addc_co_u32_e32 v72, vcc, 0, v73, vcc
	global_load_dword v81, v[71:72], off offset:500
	global_load_dword v82, v[71:72], off offset:1000
	;; [unrolled: 1-line block ×7, first 2 shown]
	s_movk_i32 s2, 0x2000
	global_load_dword v129, v[71:72], off offset:4000
	v_add_co_u32_e32 v76, vcc, s2, v56
	v_addc_co_u32_e32 v77, vcc, 0, v73, vcc
	global_load_dword v130, v[76:77], off offset:2808
	global_load_dword v132, v[76:77], off offset:3308
	v_add_co_u32_e32 v78, vcc, 0x3000, v56
	ds_read2_b32 v[74:75], v83 offset1:125
	v_addc_co_u32_e32 v79, vcc, 0, v73, vcc
	global_load_dword v133, v[76:77], off offset:3808
	global_load_dword v134, v[78:79], off offset:212
	s_waitcnt lgkmcnt(0)
	v_lshrrev_b32_e32 v131, 16, v74
	v_lshrrev_b32_e32 v78, 16, v75
	s_waitcnt vmcnt(12)
	v_mul_f16_sdwa v73, v131, v80 dst_sel:DWORD dst_unused:UNUSED_PAD src0_sel:DWORD src1_sel:WORD_1
	v_fma_f16 v73, v74, v80, -v73
	v_mul_f16_sdwa v74, v74, v80 dst_sel:DWORD dst_unused:UNUSED_PAD src0_sel:DWORD src1_sel:WORD_1
	v_fma_f16 v74, v131, v80, v74
	v_pack_b32_f16 v74, v73, v74
	s_waitcnt vmcnt(11)
	v_mul_f16_sdwa v73, v78, v81 dst_sel:DWORD dst_unused:UNUSED_PAD src0_sel:DWORD src1_sel:WORD_1
	v_fma_f16 v79, v75, v81, -v73
	v_add_u32_e32 v73, 0x200, v83
	ds_read2_b32 v[76:77], v73 offset0:122 offset1:247
	v_mul_f16_sdwa v75, v75, v81 dst_sel:DWORD dst_unused:UNUSED_PAD src0_sel:DWORD src1_sel:WORD_1
	v_fma_f16 v75, v78, v81, v75
	v_pack_b32_f16 v75, v79, v75
	ds_write2_b32 v83, v74, v75 offset1:125
	s_waitcnt lgkmcnt(1)
	v_lshrrev_b32_e32 v74, 16, v76
	s_waitcnt vmcnt(10)
	v_mul_f16_sdwa v75, v74, v82 dst_sel:DWORD dst_unused:UNUSED_PAD src0_sel:DWORD src1_sel:WORD_1
	v_fma_f16 v75, v76, v82, -v75
	v_mul_f16_sdwa v76, v76, v82 dst_sel:DWORD dst_unused:UNUSED_PAD src0_sel:DWORD src1_sel:WORD_1
	v_fma_f16 v74, v74, v82, v76
	v_lshrrev_b32_e32 v79, 16, v77
	v_pack_b32_f16 v78, v75, v74
	s_waitcnt vmcnt(9)
	v_mul_f16_sdwa v74, v79, v112 dst_sel:DWORD dst_unused:UNUSED_PAD src0_sel:DWORD src1_sel:WORD_1
	v_fma_f16 v80, v77, v112, -v74
	v_add_u32_e32 v74, 0x600, v83
	ds_read2_b32 v[75:76], v74 offset0:116 offset1:241
	v_mul_f16_sdwa v77, v77, v112 dst_sel:DWORD dst_unused:UNUSED_PAD src0_sel:DWORD src1_sel:WORD_1
	v_fma_f16 v77, v79, v112, v77
	v_pack_b32_f16 v77, v80, v77
	ds_write2_b32 v73, v78, v77 offset0:122 offset1:247
	s_waitcnt lgkmcnt(1)
	v_lshrrev_b32_e32 v77, 16, v75
	s_waitcnt vmcnt(8)
	v_mul_f16_sdwa v78, v77, v113 dst_sel:DWORD dst_unused:UNUSED_PAD src0_sel:DWORD src1_sel:WORD_1
	v_fma_f16 v78, v75, v113, -v78
	v_mul_f16_sdwa v75, v75, v113 dst_sel:DWORD dst_unused:UNUSED_PAD src0_sel:DWORD src1_sel:WORD_1
	v_lshrrev_b32_e32 v80, 16, v76
	v_fma_f16 v75, v77, v113, v75
	s_waitcnt vmcnt(7)
	v_mul_f16_sdwa v77, v80, v114 dst_sel:DWORD dst_unused:UNUSED_PAD src0_sel:DWORD src1_sel:WORD_1
	v_fma_f16 v81, v76, v114, -v77
	v_add_u32_e32 v77, 0xa00, v83
	v_pack_b32_f16 v75, v78, v75
	ds_read2_b32 v[78:79], v77 offset0:110 offset1:235
	v_mul_f16_sdwa v76, v76, v114 dst_sel:DWORD dst_unused:UNUSED_PAD src0_sel:DWORD src1_sel:WORD_1
	v_fma_f16 v76, v80, v114, v76
	v_pack_b32_f16 v76, v81, v76
	ds_write2_b32 v74, v75, v76 offset0:116 offset1:241
	s_waitcnt lgkmcnt(1)
	v_lshrrev_b32_e32 v75, 16, v78
	s_waitcnt vmcnt(6)
	v_mul_f16_sdwa v76, v75, v127 dst_sel:DWORD dst_unused:UNUSED_PAD src0_sel:DWORD src1_sel:WORD_1
	v_fma_f16 v76, v78, v127, -v76
	v_mul_f16_sdwa v78, v78, v127 dst_sel:DWORD dst_unused:UNUSED_PAD src0_sel:DWORD src1_sel:WORD_1
	v_fma_f16 v75, v75, v127, v78
	v_lshrrev_b32_e32 v81, 16, v79
	v_pack_b32_f16 v80, v76, v75
	s_waitcnt vmcnt(5)
	v_mul_f16_sdwa v75, v81, v128 dst_sel:DWORD dst_unused:UNUSED_PAD src0_sel:DWORD src1_sel:WORD_1
	v_add_u32_e32 v78, 0xe00, v83
	v_fma_f16 v82, v79, v128, -v75
	ds_read2_b32 v[75:76], v78 offset0:104 offset1:229
	v_mul_f16_sdwa v79, v79, v128 dst_sel:DWORD dst_unused:UNUSED_PAD src0_sel:DWORD src1_sel:WORD_1
	v_fma_f16 v79, v81, v128, v79
	v_pack_b32_f16 v79, v82, v79
	ds_write2_b32 v77, v80, v79 offset0:110 offset1:235
	s_waitcnt lgkmcnt(1)
	v_lshrrev_b32_e32 v79, 16, v75
	s_waitcnt vmcnt(4)
	v_mul_f16_sdwa v80, v79, v129 dst_sel:DWORD dst_unused:UNUSED_PAD src0_sel:DWORD src1_sel:WORD_1
	v_fma_f16 v80, v75, v129, -v80
	v_mul_f16_sdwa v75, v75, v129 dst_sel:DWORD dst_unused:UNUSED_PAD src0_sel:DWORD src1_sel:WORD_1
	v_lshrrev_b32_e32 v82, 16, v76
	v_fma_f16 v75, v79, v129, v75
	s_waitcnt vmcnt(3)
	v_mul_f16_sdwa v79, v82, v130 dst_sel:DWORD dst_unused:UNUSED_PAD src0_sel:DWORD src1_sel:WORD_1
	v_add_u32_e32 v81, 0x1200, v83
	v_pack_b32_f16 v75, v80, v75
	v_fma_f16 v112, v76, v130, -v79
	ds_read2_b32 v[79:80], v81 offset0:98 offset1:223
	v_mul_f16_sdwa v76, v76, v130 dst_sel:DWORD dst_unused:UNUSED_PAD src0_sel:DWORD src1_sel:WORD_1
	v_fma_f16 v76, v82, v130, v76
	v_pack_b32_f16 v76, v112, v76
	ds_write2_b32 v78, v75, v76 offset0:104 offset1:229
	s_waitcnt lgkmcnt(1)
	v_lshrrev_b32_e32 v75, 16, v79
	s_waitcnt vmcnt(2)
	v_mul_f16_sdwa v76, v75, v132 dst_sel:DWORD dst_unused:UNUSED_PAD src0_sel:DWORD src1_sel:WORD_1
	v_fma_f16 v76, v79, v132, -v76
	v_mul_f16_sdwa v79, v79, v132 dst_sel:DWORD dst_unused:UNUSED_PAD src0_sel:DWORD src1_sel:WORD_1
	v_fma_f16 v75, v75, v132, v79
	v_pack_b32_f16 v75, v76, v75
	v_lshrrev_b32_e32 v76, 16, v80
	ds_read_b32 v82, v83 offset:6000
	s_waitcnt vmcnt(1)
	v_mul_f16_sdwa v79, v76, v133 dst_sel:DWORD dst_unused:UNUSED_PAD src0_sel:DWORD src1_sel:WORD_1
	v_fma_f16 v79, v80, v133, -v79
	v_mul_f16_sdwa v80, v80, v133 dst_sel:DWORD dst_unused:UNUSED_PAD src0_sel:DWORD src1_sel:WORD_1
	v_fma_f16 v76, v76, v133, v80
	v_pack_b32_f16 v76, v79, v76
	ds_write2_b32 v81, v75, v76 offset0:98 offset1:223
	s_waitcnt lgkmcnt(1)
	v_lshrrev_b32_e32 v75, 16, v82
	s_waitcnt vmcnt(0)
	v_mul_f16_sdwa v76, v75, v134 dst_sel:DWORD dst_unused:UNUSED_PAD src0_sel:DWORD src1_sel:WORD_1
	v_mul_f16_sdwa v79, v82, v134 dst_sel:DWORD dst_unused:UNUSED_PAD src0_sel:DWORD src1_sel:WORD_1
	v_fma_f16 v76, v82, v134, -v76
	v_fma_f16 v75, v75, v134, v79
	v_pack_b32_f16 v75, v76, v75
	ds_write_b32 v83, v75 offset:6000
	s_and_saveexec_b64 s[2:3], s[0:1]
	s_cbranch_execz .LBB0_9
; %bb.8:
	global_load_dword v75, v[71:72], off offset:260
	global_load_dword v82, v[71:72], off offset:760
	;; [unrolled: 1-line block ×8, first 2 shown]
	v_add_co_u32_e32 v71, vcc, s15, v71
	v_addc_co_u32_e32 v72, vcc, 0, v72, vcc
	global_load_dword v136, v[71:72], off offset:164
	global_load_dword v137, v[71:72], off offset:664
	;; [unrolled: 1-line block ×3, first 2 shown]
	ds_read_b32 v76, v99 offset:260
	global_load_dword v140, v[71:72], off offset:1664
	global_load_dword v141, v[71:72], off offset:2164
	v_add_u32_e32 v139, 0x1600, v83
	s_waitcnt lgkmcnt(0)
	v_lshrrev_b32_e32 v71, 16, v76
	s_waitcnt vmcnt(12)
	v_mul_f16_sdwa v72, v71, v75 dst_sel:DWORD dst_unused:UNUSED_PAD src0_sel:DWORD src1_sel:WORD_1
	v_mul_f16_sdwa v79, v76, v75 dst_sel:DWORD dst_unused:UNUSED_PAD src0_sel:DWORD src1_sel:WORD_1
	v_fma_f16 v72, v76, v75, -v72
	v_fma_f16 v71, v71, v75, v79
	v_pack_b32_f16 v71, v72, v71
	ds_write_b32 v99, v71 offset:260
	ds_read2_b32 v[71:72], v73 offset0:62 offset1:187
	ds_read2_b32 v[75:76], v74 offset0:56 offset1:181
	;; [unrolled: 1-line block ×6, first 2 shown]
	s_waitcnt lgkmcnt(5)
	v_lshrrev_b32_e32 v142, 16, v71
	s_waitcnt vmcnt(11)
	v_mul_f16_sdwa v143, v71, v82 dst_sel:DWORD dst_unused:UNUSED_PAD src0_sel:DWORD src1_sel:WORD_1
	v_lshrrev_b32_e32 v144, 16, v72
	s_waitcnt vmcnt(10)
	v_mul_f16_sdwa v145, v72, v114 dst_sel:DWORD dst_unused:UNUSED_PAD src0_sel:DWORD src1_sel:WORD_1
	s_waitcnt lgkmcnt(4)
	v_lshrrev_b32_e32 v146, 16, v75
	s_waitcnt vmcnt(9)
	v_mul_f16_sdwa v147, v75, v131 dst_sel:DWORD dst_unused:UNUSED_PAD src0_sel:DWORD src1_sel:WORD_1
	v_lshrrev_b32_e32 v148, 16, v76
	s_waitcnt vmcnt(8)
	v_mul_f16_sdwa v149, v76, v132 dst_sel:DWORD dst_unused:UNUSED_PAD src0_sel:DWORD src1_sel:WORD_1
	;; [unrolled: 7-line block ×3, first 2 shown]
	s_waitcnt lgkmcnt(2)
	v_lshrrev_b32_e32 v154, 16, v112
	s_waitcnt vmcnt(5)
	v_mul_f16_sdwa v155, v112, v135 dst_sel:DWORD dst_unused:UNUSED_PAD src0_sel:DWORD src1_sel:WORD_1
	v_lshrrev_b32_e32 v156, 16, v113
	v_mul_f16_sdwa v162, v142, v82 dst_sel:DWORD dst_unused:UNUSED_PAD src0_sel:DWORD src1_sel:WORD_1
	v_fma_f16 v142, v142, v82, v143
	v_mul_f16_sdwa v143, v144, v114 dst_sel:DWORD dst_unused:UNUSED_PAD src0_sel:DWORD src1_sel:WORD_1
	s_waitcnt vmcnt(4)
	v_mul_f16_sdwa v157, v113, v136 dst_sel:DWORD dst_unused:UNUSED_PAD src0_sel:DWORD src1_sel:WORD_1
	s_waitcnt lgkmcnt(1)
	v_lshrrev_b32_e32 v158, 16, v127
	s_waitcnt vmcnt(3)
	v_mul_f16_sdwa v159, v127, v137 dst_sel:DWORD dst_unused:UNUSED_PAD src0_sel:DWORD src1_sel:WORD_1
	v_lshrrev_b32_e32 v160, 16, v128
	v_fma_f16 v144, v144, v114, v145
	v_mul_f16_sdwa v145, v146, v131 dst_sel:DWORD dst_unused:UNUSED_PAD src0_sel:DWORD src1_sel:WORD_1
	v_fma_f16 v146, v146, v131, v147
	v_mul_f16_sdwa v147, v148, v132 dst_sel:DWORD dst_unused:UNUSED_PAD src0_sel:DWORD src1_sel:WORD_1
	;; [unrolled: 2-line block ×6, first 2 shown]
	v_fma_f16 v71, v71, v82, -v162
	v_fma_f16 v72, v72, v114, -v143
	s_waitcnt vmcnt(2)
	v_mul_f16_sdwa v161, v128, v138 dst_sel:DWORD dst_unused:UNUSED_PAD src0_sel:DWORD src1_sel:WORD_1
	v_fma_f16 v156, v156, v136, v157
	v_mul_f16_sdwa v157, v158, v137 dst_sel:DWORD dst_unused:UNUSED_PAD src0_sel:DWORD src1_sel:WORD_1
	v_fma_f16 v158, v158, v137, v159
	v_mul_f16_sdwa v159, v160, v138 dst_sel:DWORD dst_unused:UNUSED_PAD src0_sel:DWORD src1_sel:WORD_1
	v_fma_f16 v75, v75, v131, -v145
	v_fma_f16 v76, v76, v132, -v147
	;; [unrolled: 1-line block ×6, first 2 shown]
	v_pack_b32_f16 v71, v71, v142
	v_pack_b32_f16 v72, v72, v144
	v_fma_f16 v113, v127, v137, -v157
	v_fma_f16 v114, v128, v138, -v159
	v_pack_b32_f16 v75, v75, v146
	v_pack_b32_f16 v76, v76, v148
	;; [unrolled: 1-line block ×6, first 2 shown]
	ds_write2_b32 v73, v71, v72 offset0:62 offset1:187
	ds_write2_b32 v74, v75, v76 offset0:56 offset1:181
	;; [unrolled: 1-line block ×4, first 2 shown]
	v_fma_f16 v71, v160, v138, v161
	v_pack_b32_f16 v113, v113, v158
	v_pack_b32_f16 v71, v114, v71
	ds_write2_b32 v81, v113, v71 offset0:38 offset1:163
	s_waitcnt lgkmcnt(5)
	v_lshrrev_b32_e32 v71, 16, v129
	s_waitcnt vmcnt(1)
	v_mul_f16_sdwa v72, v71, v140 dst_sel:DWORD dst_unused:UNUSED_PAD src0_sel:DWORD src1_sel:WORD_1
	v_mul_f16_sdwa v75, v129, v140 dst_sel:DWORD dst_unused:UNUSED_PAD src0_sel:DWORD src1_sel:WORD_1
	v_fma_f16 v72, v129, v140, -v72
	v_fma_f16 v71, v71, v140, v75
	v_pack_b32_f16 v71, v72, v71
	v_lshrrev_b32_e32 v72, 16, v130
	s_waitcnt vmcnt(0)
	v_mul_f16_sdwa v75, v72, v141 dst_sel:DWORD dst_unused:UNUSED_PAD src0_sel:DWORD src1_sel:WORD_1
	v_mul_f16_sdwa v76, v130, v141 dst_sel:DWORD dst_unused:UNUSED_PAD src0_sel:DWORD src1_sel:WORD_1
	v_fma_f16 v75, v130, v141, -v75
	v_fma_f16 v72, v72, v141, v76
	v_pack_b32_f16 v72, v75, v72
	ds_write2_b32 v139, v71, v72 offset0:32 offset1:157
.LBB0_9:
	s_or_b64 exec, exec, s[2:3]
	s_waitcnt lgkmcnt(0)
	s_barrier
	ds_read2_b32 v[71:72], v83 offset1:125
	ds_read2_b32 v[79:80], v73 offset0:122 offset1:247
	ds_read2_b32 v[75:76], v74 offset0:116 offset1:241
	;; [unrolled: 1-line block ×5, first 2 shown]
	ds_read_b32 v127, v83 offset:6000
	s_and_saveexec_b64 s[2:3], s[0:1]
	s_cbranch_execz .LBB0_11
; %bb.10:
	v_add_u32_e32 v63, 0x800, v99
	v_add_u32_e32 v61, 0x400, v99
	ds_read2_b32 v[65:66], v63 offset0:53 offset1:178
	v_add_u32_e32 v63, 0xc00, v99
	v_add_u32_e32 v67, 0x1000, v99
	;; [unrolled: 1-line block ×3, first 2 shown]
	ds_read2_b32 v[59:60], v99 offset0:65 offset1:190
	ds_read2_b32 v[61:62], v61 offset0:59 offset1:184
	;; [unrolled: 1-line block ×5, first 2 shown]
	ds_read_b32 v103, v99 offset:6260
	s_waitcnt lgkmcnt(5)
	v_lshrrev_b32_e32 v115, 16, v59
	v_lshrrev_b32_e32 v116, 16, v60
	s_waitcnt lgkmcnt(4)
	v_lshrrev_b32_e32 v117, 16, v61
	v_lshrrev_b32_e32 v118, 16, v62
	;; [unrolled: 1-line block ×4, first 2 shown]
	s_waitcnt lgkmcnt(3)
	v_lshrrev_b32_e32 v119, 16, v63
	v_lshrrev_b32_e32 v122, 16, v64
	s_waitcnt lgkmcnt(2)
	v_lshrrev_b32_e32 v123, 16, v67
	v_lshrrev_b32_e32 v125, 16, v68
	;; [unrolled: 3-line block ×3, first 2 shown]
	s_waitcnt lgkmcnt(0)
	v_lshrrev_b32_e32 v102, 16, v103
.LBB0_11:
	s_or_b64 exec, exec, s[2:3]
	s_waitcnt lgkmcnt(6)
	v_pk_add_f16 v128, v71, v72
	s_waitcnt lgkmcnt(5)
	v_pk_add_f16 v128, v128, v79
	v_pk_add_f16 v128, v128, v80
	s_waitcnt lgkmcnt(4)
	v_pk_add_f16 v128, v128, v75
	;; [unrolled: 3-line block ×6, first 2 shown]
	v_pk_add_f16 v72, v72, v127 neg_lo:[0,1] neg_hi:[0,1]
	s_mov_b32 s12, 0xb770
	v_pk_add_f16 v128, v128, v127
	v_pk_mul_f16 v127, v72, s12 op_sel_hi:[1,0]
	s_movk_i32 s4, 0x3b15
	s_mov_b32 s13, 0xba95
	v_pk_add_f16 v148, v82, v79
	v_pk_add_f16 v79, v79, v82 neg_lo:[0,1] neg_hi:[0,1]
	v_pk_fma_f16 v130, v129, s4, v127 op_sel:[0,0,1] op_sel_hi:[1,0,0]
	v_pk_fma_f16 v127, v129, s4, v127 op_sel:[0,0,1] op_sel_hi:[1,0,0] neg_lo:[0,0,1] neg_hi:[0,0,1]
	s_mov_b32 s2, 0xffff
	s_movk_i32 s5, 0x388b
	v_pk_mul_f16 v82, v79, s13 op_sel_hi:[1,0]
	v_bfi_b32 v131, s2, v130, v127
	v_pk_fma_f16 v149, v148, s5, v82 op_sel:[0,0,1] op_sel_hi:[1,0,0]
	v_pk_fma_f16 v82, v148, s5, v82 op_sel:[0,0,1] op_sel_hi:[1,0,0] neg_lo:[0,0,1] neg_hi:[0,0,1]
	v_pk_add_f16 v131, v71, v131
	v_mul_f16_sdwa v132, v72, s13 dst_sel:DWORD dst_unused:UNUSED_PAD src0_sel:WORD_1 src1_sel:DWORD
	s_mov_b32 s17, 0xbb7b
	v_bfi_b32 v150, s2, v149, v82
	v_fma_f16 v133, v129, s5, v132
	s_mov_b32 s16, 0xb5ac
	v_pk_add_f16 v131, v150, v131
	v_mul_f16_sdwa v150, v79, s17 dst_sel:DWORD dst_unused:UNUSED_PAD src0_sel:WORD_1 src1_sel:DWORD
	v_add_f16_e32 v133, v71, v133
	v_mul_f16_sdwa v134, v129, s5 dst_sel:DWORD dst_unused:UNUSED_PAD src0_sel:WORD_1 src1_sel:DWORD
	s_movk_i32 s24, 0x3a95
	v_fma_f16 v132, v129, s5, -v132
	v_fma_f16 v151, v148, s16, v150
	v_fma_f16 v135, v72, s24, v134
	v_add_f16_e32 v132, v71, v132
	v_fma_f16 v134, v72, s13, v134
	s_mov_b32 s15, 0xbbf1
	v_add_f16_e32 v133, v151, v133
	v_mul_f16_sdwa v151, v148, s16 dst_sel:DWORD dst_unused:UNUSED_PAD src0_sel:WORD_1 src1_sel:DWORD
	v_fma_f16 v150, v148, s16, -v150
	v_add_f16_sdwa v134, v71, v134 dst_sel:DWORD dst_unused:UNUSED_PAD src0_sel:WORD_1 src1_sel:DWORD
	v_mul_f16_sdwa v136, v72, s15 dst_sel:DWORD dst_unused:UNUSED_PAD src0_sel:WORD_1 src1_sel:DWORD
	s_movk_i32 s14, 0x2fb7
	v_add_f16_e32 v132, v150, v132
	v_fma_f16 v150, v79, s17, v151
	s_mov_b32 s22, 0xb3a8
	v_fma_f16 v137, v129, s14, v136
	s_movk_i32 s25, 0x3b7b
	v_add_f16_e32 v134, v150, v134
	v_mul_f16_sdwa v150, v79, s22 dst_sel:DWORD dst_unused:UNUSED_PAD src0_sel:WORD_1 src1_sel:DWORD
	s_mov_b32 s21, 0xbbc4
	v_add_f16_e32 v137, v71, v137
	v_mul_f16_sdwa v138, v129, s14 dst_sel:DWORD dst_unused:UNUSED_PAD src0_sel:WORD_1 src1_sel:DWORD
	s_movk_i32 s20, 0x3bf1
	v_fma_f16 v136, v129, s14, -v136
	v_fma_f16 v152, v79, s25, v151
	v_fma_f16 v151, v148, s21, v150
	;; [unrolled: 1-line block ×3, first 2 shown]
	v_add_f16_e32 v136, v71, v136
	v_fma_f16 v138, v72, s15, v138
	v_add_f16_e32 v137, v151, v137
	v_mul_f16_sdwa v151, v148, s21 dst_sel:DWORD dst_unused:UNUSED_PAD src0_sel:WORD_1 src1_sel:DWORD
	v_fma_f16 v150, v148, s21, -v150
	v_add_f16_sdwa v138, v71, v138 dst_sel:DWORD dst_unused:UNUSED_PAD src0_sel:WORD_1 src1_sel:DWORD
	v_mul_f16_sdwa v140, v72, s17 dst_sel:DWORD dst_unused:UNUSED_PAD src0_sel:WORD_1 src1_sel:DWORD
	s_movk_i32 s23, 0x394e
	v_add_f16_e32 v136, v150, v136
	v_fma_f16 v150, v79, s22, v151
	v_add_f16_sdwa v135, v71, v135 dst_sel:DWORD dst_unused:UNUSED_PAD src0_sel:WORD_1 src1_sel:DWORD
	v_fma_f16 v141, v129, s16, v140
	s_mov_b32 s18, 0xb9fd
	s_movk_i32 s26, 0x33a8
	v_add_f16_e32 v138, v150, v138
	v_mul_f16_sdwa v150, v79, s23 dst_sel:DWORD dst_unused:UNUSED_PAD src0_sel:WORD_1 src1_sel:DWORD
	v_add_f16_e32 v141, v71, v141
	v_mul_f16_sdwa v142, v129, s16 dst_sel:DWORD dst_unused:UNUSED_PAD src0_sel:WORD_1 src1_sel:DWORD
	v_fma_f16 v140, v129, s16, -v140
	v_add_f16_e32 v135, v152, v135
	v_fma_f16 v152, v79, s26, v151
	v_fma_f16 v151, v148, s18, v150
	;; [unrolled: 1-line block ×3, first 2 shown]
	v_add_f16_e32 v140, v71, v140
	v_fma_f16 v142, v72, s17, v142
	s_mov_b32 s19, 0xb94e
	v_add_f16_e32 v141, v151, v141
	v_mul_f16_sdwa v151, v148, s18 dst_sel:DWORD dst_unused:UNUSED_PAD src0_sel:WORD_1 src1_sel:DWORD
	v_fma_f16 v150, v148, s18, -v150
	v_add_f16_sdwa v142, v71, v142 dst_sel:DWORD dst_unused:UNUSED_PAD src0_sel:WORD_1 src1_sel:DWORD
	v_mul_f16_sdwa v144, v72, s19 dst_sel:DWORD dst_unused:UNUSED_PAD src0_sel:WORD_1 src1_sel:DWORD
	v_add_f16_e32 v140, v150, v140
	v_fma_f16 v150, v79, s23, v151
	v_add_f16_sdwa v139, v71, v139 dst_sel:DWORD dst_unused:UNUSED_PAD src0_sel:WORD_1 src1_sel:DWORD
	v_fma_f16 v145, v129, s18, v144
	v_add_f16_e32 v142, v150, v142
	v_mul_f16_sdwa v150, v79, s20 dst_sel:DWORD dst_unused:UNUSED_PAD src0_sel:WORD_1 src1_sel:DWORD
	v_add_f16_e32 v145, v71, v145
	v_mul_f16_sdwa v146, v129, s18 dst_sel:DWORD dst_unused:UNUSED_PAD src0_sel:WORD_1 src1_sel:DWORD
	v_fma_f16 v144, v129, s18, -v144
	v_add_f16_e32 v139, v152, v139
	v_fma_f16 v152, v79, s19, v151
	v_fma_f16 v151, v148, s14, v150
	;; [unrolled: 1-line block ×3, first 2 shown]
	v_add_f16_e32 v144, v71, v144
	v_fma_f16 v146, v72, s19, v146
	v_add_f16_e32 v145, v151, v145
	v_mul_f16_sdwa v151, v148, s14 dst_sel:DWORD dst_unused:UNUSED_PAD src0_sel:WORD_1 src1_sel:DWORD
	v_fma_f16 v150, v148, s14, -v150
	v_add_f16_sdwa v146, v71, v146 dst_sel:DWORD dst_unused:UNUSED_PAD src0_sel:WORD_1 src1_sel:DWORD
	v_add_f16_e32 v144, v150, v144
	v_fma_f16 v150, v79, s20, v151
	v_add_f16_e32 v146, v150, v146
	v_pk_add_f16 v150, v81, v80
	v_pk_add_f16 v80, v80, v81 neg_lo:[0,1] neg_hi:[0,1]
	v_add_f16_sdwa v143, v71, v143 dst_sel:DWORD dst_unused:UNUSED_PAD src0_sel:WORD_1 src1_sel:DWORD
	v_pk_mul_f16 v81, v80, s15 op_sel_hi:[1,0]
	v_add_f16_sdwa v147, v71, v147 dst_sel:DWORD dst_unused:UNUSED_PAD src0_sel:WORD_1 src1_sel:DWORD
	v_add_f16_e32 v143, v152, v143
	v_fma_f16 v152, v79, s15, v151
	v_pk_fma_f16 v151, v150, s14, v81 op_sel:[0,0,1] op_sel_hi:[1,0,0]
	v_pk_fma_f16 v81, v150, s14, v81 op_sel:[0,0,1] op_sel_hi:[1,0,0] neg_lo:[0,0,1] neg_hi:[0,0,1]
	v_add_f16_e32 v147, v152, v147
	v_bfi_b32 v152, s2, v151, v81
	v_pk_add_f16 v131, v152, v131
	v_mul_f16_sdwa v152, v80, s22 dst_sel:DWORD dst_unused:UNUSED_PAD src0_sel:WORD_1 src1_sel:DWORD
	v_fma_f16 v153, v150, s21, v152
	v_add_f16_e32 v133, v153, v133
	v_mul_f16_sdwa v153, v150, s21 dst_sel:DWORD dst_unused:UNUSED_PAD src0_sel:WORD_1 src1_sel:DWORD
	v_fma_f16 v152, v150, s21, -v152
	v_add_f16_e32 v132, v152, v132
	v_fma_f16 v152, v80, s22, v153
	v_add_f16_e32 v134, v152, v134
	v_mul_f16_sdwa v152, v80, s25 dst_sel:DWORD dst_unused:UNUSED_PAD src0_sel:WORD_1 src1_sel:DWORD
	v_fma_f16 v154, v80, s26, v153
	v_fma_f16 v153, v150, s16, v152
	v_add_f16_e32 v137, v153, v137
	v_mul_f16_sdwa v153, v150, s16 dst_sel:DWORD dst_unused:UNUSED_PAD src0_sel:WORD_1 src1_sel:DWORD
	v_fma_f16 v152, v150, s16, -v152
	v_add_f16_e32 v136, v152, v136
	v_fma_f16 v152, v80, s25, v153
	s_movk_i32 s27, 0x3770
	v_add_f16_e32 v138, v152, v138
	v_mul_f16_sdwa v152, v80, s27 dst_sel:DWORD dst_unused:UNUSED_PAD src0_sel:WORD_1 src1_sel:DWORD
	v_add_f16_e32 v135, v154, v135
	v_fma_f16 v154, v80, s17, v153
	v_fma_f16 v153, v150, s4, v152
	v_add_f16_e32 v141, v153, v141
	v_mul_f16_sdwa v153, v150, s4 dst_sel:DWORD dst_unused:UNUSED_PAD src0_sel:WORD_1 src1_sel:DWORD
	v_fma_f16 v152, v150, s4, -v152
	v_add_f16_e32 v140, v152, v140
	v_fma_f16 v152, v80, s27, v153
	v_add_f16_e32 v142, v152, v142
	v_mul_f16_sdwa v152, v80, s13 dst_sel:DWORD dst_unused:UNUSED_PAD src0_sel:WORD_1 src1_sel:DWORD
	v_add_f16_e32 v139, v154, v139
	v_fma_f16 v154, v80, s12, v153
	v_fma_f16 v153, v150, s5, v152
	v_add_f16_e32 v145, v153, v145
	v_mul_f16_sdwa v153, v150, s5 dst_sel:DWORD dst_unused:UNUSED_PAD src0_sel:WORD_1 src1_sel:DWORD
	v_fma_f16 v152, v150, s5, -v152
	v_add_f16_e32 v144, v152, v144
	v_fma_f16 v152, v80, s13, v153
	v_add_f16_e32 v146, v152, v146
	v_pk_add_f16 v152, v78, v75
	v_pk_add_f16 v75, v75, v78 neg_lo:[0,1] neg_hi:[0,1]
	v_pk_mul_f16 v78, v75, s17 op_sel_hi:[1,0]
	v_add_f16_e32 v143, v154, v143
	v_fma_f16 v154, v80, s24, v153
	v_pk_fma_f16 v153, v152, s16, v78 op_sel:[0,0,1] op_sel_hi:[1,0,0]
	v_pk_fma_f16 v78, v152, s16, v78 op_sel:[0,0,1] op_sel_hi:[1,0,0] neg_lo:[0,0,1] neg_hi:[0,0,1]
	v_add_f16_e32 v147, v154, v147
	v_bfi_b32 v154, s2, v153, v78
	v_pk_add_f16 v131, v154, v131
	v_mul_f16_sdwa v154, v75, s23 dst_sel:DWORD dst_unused:UNUSED_PAD src0_sel:WORD_1 src1_sel:DWORD
	v_fma_f16 v155, v152, s18, v154
	v_add_f16_e32 v133, v155, v133
	v_mul_f16_sdwa v155, v152, s18 dst_sel:DWORD dst_unused:UNUSED_PAD src0_sel:WORD_1 src1_sel:DWORD
	v_fma_f16 v154, v152, s18, -v154
	v_add_f16_e32 v132, v154, v132
	v_fma_f16 v154, v75, s23, v155
	v_add_f16_e32 v134, v154, v134
	v_mul_f16_sdwa v154, v75, s27 dst_sel:DWORD dst_unused:UNUSED_PAD src0_sel:WORD_1 src1_sel:DWORD
	v_fma_f16 v156, v75, s19, v155
	v_fma_f16 v155, v152, s4, v154
	v_add_f16_e32 v137, v155, v137
	v_mul_f16_sdwa v155, v152, s4 dst_sel:DWORD dst_unused:UNUSED_PAD src0_sel:WORD_1 src1_sel:DWORD
	v_fma_f16 v154, v152, s4, -v154
	v_add_f16_e32 v136, v154, v136
	v_fma_f16 v154, v75, s27, v155
	v_add_f16_e32 v138, v154, v138
	v_mul_f16_sdwa v154, v75, s15 dst_sel:DWORD dst_unused:UNUSED_PAD src0_sel:WORD_1 src1_sel:DWORD
	v_add_f16_e32 v135, v156, v135
	v_fma_f16 v156, v75, s12, v155
	v_fma_f16 v155, v152, s14, v154
	v_add_f16_e32 v141, v155, v141
	v_mul_f16_sdwa v155, v152, s14 dst_sel:DWORD dst_unused:UNUSED_PAD src0_sel:WORD_1 src1_sel:DWORD
	v_fma_f16 v154, v152, s14, -v154
	v_add_f16_e32 v140, v154, v140
	v_fma_f16 v154, v75, s15, v155
	v_add_f16_e32 v142, v154, v142
	v_mul_f16_sdwa v154, v75, s26 dst_sel:DWORD dst_unused:UNUSED_PAD src0_sel:WORD_1 src1_sel:DWORD
	v_add_f16_e32 v139, v156, v139
	v_fma_f16 v156, v75, s20, v155
	v_fma_f16 v155, v152, s21, v154
	v_add_f16_e32 v145, v155, v145
	v_mul_f16_sdwa v155, v152, s21 dst_sel:DWORD dst_unused:UNUSED_PAD src0_sel:WORD_1 src1_sel:DWORD
	v_fma_f16 v154, v152, s21, -v154
	v_add_f16_e32 v144, v154, v144
	v_fma_f16 v154, v75, s26, v155
	v_add_f16_e32 v146, v154, v146
	v_pk_add_f16 v154, v77, v76
	v_pk_add_f16 v76, v76, v77 neg_lo:[0,1] neg_hi:[0,1]
	v_pk_mul_f16 v77, v76, s19 op_sel_hi:[1,0]
	v_add_f16_e32 v143, v156, v143
	v_fma_f16 v156, v75, s22, v155
	v_pk_fma_f16 v155, v154, s18, v77 op_sel:[0,0,1] op_sel_hi:[1,0,0]
	v_pk_fma_f16 v77, v154, s18, v77 op_sel:[0,0,1] op_sel_hi:[1,0,0] neg_lo:[0,0,1] neg_hi:[0,0,1]
	v_add_f16_e32 v147, v156, v147
	v_bfi_b32 v156, s2, v155, v77
	v_pk_add_f16 v131, v156, v131
	v_mul_f16_sdwa v156, v76, s20 dst_sel:DWORD dst_unused:UNUSED_PAD src0_sel:WORD_1 src1_sel:DWORD
	v_fma_f16 v157, v154, s14, v156
	v_add_f16_e32 v133, v157, v133
	v_mul_f16_sdwa v157, v154, s14 dst_sel:DWORD dst_unused:UNUSED_PAD src0_sel:WORD_1 src1_sel:DWORD
	v_fma_f16 v156, v154, s14, -v156
	v_add_f16_e32 v132, v156, v132
	v_fma_f16 v156, v76, s20, v157
	v_add_f16_e32 v134, v156, v134
	v_mul_f16_sdwa v156, v76, s13 dst_sel:DWORD dst_unused:UNUSED_PAD src0_sel:WORD_1 src1_sel:DWORD
	v_fma_f16 v158, v76, s15, v157
	v_fma_f16 v157, v154, s5, v156
	v_add_f16_e32 v137, v157, v137
	v_mul_f16_sdwa v157, v154, s5 dst_sel:DWORD dst_unused:UNUSED_PAD src0_sel:WORD_1 src1_sel:DWORD
	v_fma_f16 v156, v154, s5, -v156
	v_add_f16_e32 v136, v156, v136
	v_fma_f16 v156, v76, s13, v157
	;; [unrolled: 47-line block ×3, first 2 shown]
	v_add_f16_e32 v138, v158, v138
	v_mul_f16_sdwa v158, v73, s24 dst_sel:DWORD dst_unused:UNUSED_PAD src0_sel:WORD_1 src1_sel:DWORD
	v_add_f16_e32 v135, v160, v135
	v_fma_f16 v160, v73, s23, v159
	v_fma_f16 v159, v156, s5, v158
	v_add_f16_e32 v141, v159, v141
	v_mul_f16_sdwa v159, v156, s5 dst_sel:DWORD dst_unused:UNUSED_PAD src0_sel:WORD_1 src1_sel:DWORD
	v_fma_f16 v158, v156, s5, -v158
	v_add_f16_e32 v140, v158, v140
	v_fma_f16 v158, v73, s24, v159
	v_add_f16_e32 v142, v158, v142
	v_mul_f16_sdwa v158, v73, s17 dst_sel:DWORD dst_unused:UNUSED_PAD src0_sel:WORD_1 src1_sel:DWORD
	v_add_f16_e32 v139, v160, v139
	v_fma_f16 v160, v73, s13, v159
	v_fma_f16 v159, v156, s16, v158
	v_add_f16_e32 v145, v159, v145
	v_mul_f16_sdwa v159, v156, s16 dst_sel:DWORD dst_unused:UNUSED_PAD src0_sel:WORD_1 src1_sel:DWORD
	v_add_f16_e32 v143, v160, v143
	v_fma_f16 v160, v73, s25, v159
	s_barrier
	v_add_f16_e32 v147, v160, v147
	ds_write2_b32 v101, v128, v131 offset1:1
	v_pack_b32_f16 v128, v137, v139
	v_pack_b32_f16 v131, v133, v135
	ds_write2_b32 v101, v131, v128 offset0:2 offset1:3
	v_pack_b32_f16 v128, v145, v147
	v_pack_b32_f16 v131, v141, v143
	ds_write2_b32 v101, v131, v128 offset0:4 offset1:5
	v_pk_mul_f16 v128, v129, s21 op_sel_hi:[1,0]
	v_pk_fma_f16 v129, v72, s22, v128 op_sel:[0,0,1] op_sel_hi:[1,0,0]
	v_pk_fma_f16 v72, v72, s22, v128 op_sel:[0,0,1] op_sel_hi:[1,0,0] neg_lo:[1,0,0] neg_hi:[1,0,0]
	v_alignbit_b32 v128, s0, v71, 16
	v_alignbit_b32 v131, s0, v129, 16
	v_pk_add_f16 v128, v128, v129
	v_pk_mul_f16 v129, v148, s4 op_sel_hi:[1,0]
	v_pk_add_f16 v72, v71, v72 op_sel:[1,0] op_sel_hi:[0,1]
	v_pk_fma_f16 v133, v79, s27, v129 op_sel:[0,0,1] op_sel_hi:[1,0,0]
	v_pk_fma_f16 v79, v79, s27, v129 op_sel:[0,0,1] op_sel_hi:[1,0,0] neg_lo:[1,0,0] neg_hi:[1,0,0]
	v_pk_add_f16 v72, v79, v72
	v_pk_add_f16 v79, v133, v128
	v_pk_mul_f16 v128, v150, s18 op_sel_hi:[1,0]
	v_pk_fma_f16 v129, v80, s19, v128 op_sel:[0,0,1] op_sel_hi:[1,0,0]
	v_pk_fma_f16 v80, v80, s19, v128 op_sel:[0,0,1] op_sel_hi:[1,0,0] neg_lo:[1,0,0] neg_hi:[1,0,0]
	v_pk_add_f16 v72, v80, v72
	v_pk_mul_f16 v80, v152, s5 op_sel_hi:[1,0]
	v_pk_add_f16 v79, v129, v79
	v_pk_fma_f16 v128, v75, s24, v80 op_sel:[0,0,1] op_sel_hi:[1,0,0]
	v_pk_fma_f16 v75, v75, s24, v80 op_sel:[0,0,1] op_sel_hi:[1,0,0] neg_lo:[1,0,0] neg_hi:[1,0,0]
	v_pk_add_f16 v131, v71, v131
	v_alignbit_b32 v135, s0, v133, 16
	v_pk_add_f16 v72, v75, v72
	v_pk_add_f16 v75, v128, v79
	v_pk_mul_f16 v79, v154, s16 op_sel_hi:[1,0]
	v_pk_add_f16 v131, v135, v131
	v_alignbit_b32 v133, s0, v129, 16
	v_pk_fma_f16 v80, v76, s17, v79 op_sel:[0,0,1] op_sel_hi:[1,0,0]
	v_pk_fma_f16 v76, v76, s17, v79 op_sel:[0,0,1] op_sel_hi:[1,0,0] neg_lo:[1,0,0] neg_hi:[1,0,0]
	v_pk_add_f16 v131, v133, v131
	v_alignbit_b32 v129, s0, v128, 16
	v_pk_add_f16 v72, v76, v72
	v_pk_mul_f16 v76, v156, s14 op_sel_hi:[1,0]
	v_fma_f16 v158, v156, s16, -v158
	v_pk_add_f16 v129, v129, v131
	v_alignbit_b32 v128, s0, v80, 16
	v_pk_fma_f16 v79, v73, s20, v76 op_sel:[0,0,1] op_sel_hi:[1,0,0]
	v_add_f16_e32 v144, v158, v144
	v_fma_f16 v158, v73, s17, v159
	v_pk_add_f16 v128, v128, v129
	v_pk_add_f16 v75, v80, v75
	v_alignbit_b32 v80, s0, v79, 16
	v_pk_fma_f16 v73, v73, s20, v76 op_sel:[0,0,1] op_sel_hi:[1,0,0] neg_lo:[1,0,0] neg_hi:[1,0,0]
	v_pk_add_f16 v80, v80, v128
	v_pk_add_f16 v72, v73, v72
	;; [unrolled: 1-line block ×3, first 2 shown]
	v_add_f16_e32 v146, v158, v146
	v_alignbit_b32 v73, v73, v72, 16
	v_pack_b32_f16 v72, v80, v72
	ds_write2_b32 v101, v72, v73 offset0:6 offset1:7
	v_pack_b32_f16 v72, v140, v142
	v_pack_b32_f16 v73, v144, v146
	ds_write2_b32 v101, v73, v72 offset0:8 offset1:9
	v_pack_b32_f16 v72, v132, v134
	v_pack_b32_f16 v73, v136, v138
	ds_write2_b32 v101, v73, v72 offset0:10 offset1:11
	v_bfi_b32 v72, s2, v127, v130
	v_pk_add_f16 v71, v71, v72
	v_bfi_b32 v72, s2, v82, v149
	v_pk_add_f16 v71, v72, v71
	;; [unrolled: 2-line block ×5, first 2 shown]
	v_bfi_b32 v72, s2, v74, v157
	v_add_u32_e32 v114, 0x208, v83
	v_add_u32_e32 v113, 0x30c, v83
	;; [unrolled: 1-line block ×3, first 2 shown]
	v_pk_add_f16 v71, v72, v71
	ds_write_b32 v101, v71 offset:48
	s_and_saveexec_b64 s[2:3], s[0:1]
	s_cbranch_execz .LBB0_13
; %bb.12:
	v_add_f16_e32 v71, v102, v116
	v_mul_f16_e32 v72, 0xbbc4, v71
	v_sub_f16_e32 v73, v60, v103
	v_add_f16_e32 v75, v124, v117
	v_fma_f16 v74, v73, s26, v72
	v_mul_f16_e32 v76, 0x3b15, v75
	v_sub_f16_e32 v77, v61, v70
	v_add_f16_e32 v74, v115, v74
	v_fma_f16 v78, v77, s12, v76
	v_add_f16_e32 v74, v78, v74
	v_add_f16_e32 v78, v126, v118
	v_mul_f16_e32 v79, 0xb9fd, v78
	v_sub_f16_e32 v80, v62, v69
	v_fma_f16 v81, v80, s23, v79
	v_add_f16_e32 v74, v81, v74
	v_add_f16_e32 v81, v125, v120
	v_mul_f16_e32 v82, 0x388b, v81
	v_sub_f16_e32 v101, v65, v68
	;; [unrolled: 5-line block ×4, first 2 shown]
	v_fma_f16 v133, v132, s15, v131
	v_sub_f16_e32 v134, v116, v102
	v_add_f16_e32 v74, v133, v74
	v_add_f16_e32 v133, v103, v60
	v_mul_f16_e32 v135, 0xb3a8, v134
	v_sub_f16_e32 v138, v117, v124
	v_fma_f16 v136, v133, s21, v135
	v_add_f16_e32 v137, v70, v61
	v_mul_f16_e32 v139, 0x3770, v138
	v_add_f16_e32 v136, v59, v136
	v_fma_f16 v140, v137, s4, v139
	v_sub_f16_e32 v141, v118, v126
	v_add_f16_e32 v136, v140, v136
	v_add_f16_e32 v140, v69, v62
	v_mul_f16_e32 v142, 0xb94e, v141
	v_fma_f16 v143, v140, s18, v142
	v_sub_f16_e32 v144, v120, v125
	v_add_f16_e32 v136, v143, v136
	v_add_f16_e32 v143, v68, v65
	v_mul_f16_e32 v145, 0x3a95, v144
	;; [unrolled: 5-line block ×4, first 2 shown]
	v_fma_f16 v152, v149, s14, v151
	v_add_f16_e32 v136, v152, v136
	v_mul_f16_e32 v152, 0xb9fd, v71
	v_fma_f16 v153, v73, s23, v152
	v_mul_f16_e32 v154, 0x2fb7, v75
	v_add_f16_e32 v153, v115, v153
	v_fma_f16 v155, v77, s15, v154
	v_add_f16_e32 v153, v155, v153
	v_mul_f16_e32 v155, 0x388b, v78
	v_fma_f16 v156, v80, s24, v155
	v_add_f16_e32 v153, v156, v153
	v_mul_f16_e32 v156, 0xbbc4, v81
	v_fma_f16 v157, v101, s22, v156
	v_add_f16_e32 v153, v157, v153
	v_mul_f16_e32 v157, 0x3b15, v127
	v_fma_f16 v158, v129, s12, v157
	v_add_f16_e32 v153, v158, v153
	v_mul_f16_e32 v158, 0xb5ac, v130
	v_fma_f16 v159, v132, s25, v158
	v_add_f16_e32 v153, v159, v153
	v_mul_f16_e32 v159, 0xb94e, v134
	v_fma_f16 v160, v133, s18, v159
	v_mul_f16_e32 v161, 0x3bf1, v138
	v_add_f16_e32 v160, v59, v160
	v_fma_f16 v162, v137, s14, v161
	v_add_f16_e32 v160, v162, v160
	v_mul_f16_e32 v162, 0xba95, v141
	v_fma_f16 v163, v140, s5, v162
	v_add_f16_e32 v160, v163, v160
	v_mul_f16_e32 v163, 0x33a8, v144
	v_fma_f16 v164, v143, s21, v163
	v_add_f16_e32 v160, v164, v160
	v_mul_f16_e32 v164, 0x3770, v147
	v_fma_f16 v165, v146, s4, v164
	v_add_f16_e32 v160, v165, v160
	v_mul_f16_e32 v165, 0xbb7b, v150
	;; [unrolled: 18-line block ×3, first 2 shown]
	v_fma_f16 v173, v132, s13, v172
	v_add_f16_e32 v167, v173, v167
	v_mul_f16_e32 v173, 0xbb7b, v134
	v_fma_f16 v174, v133, s16, v173
	v_mul_f16_e32 v175, 0x394e, v138
	v_add_f16_e32 v174, v59, v174
	v_fma_f16 v176, v137, s18, v175
	v_add_f16_e32 v174, v176, v174
	v_mul_f16_e32 v176, 0x3770, v141
	v_fma_f16 v177, v140, s4, v176
	v_add_f16_e32 v60, v60, v59
	v_add_f16_e32 v174, v177, v174
	v_mul_f16_e32 v177, 0xbbf1, v144
	v_add_f16_e32 v60, v61, v60
	v_fma_f16 v178, v143, s14, v177
	v_add_f16_e32 v60, v62, v60
	v_add_f16_e32 v174, v178, v174
	v_mul_f16_e32 v178, 0x33a8, v147
	v_add_f16_e32 v60, v65, v60
	v_fma_f16 v179, v146, s21, v178
	v_add_f16_e32 v60, v66, v60
	v_fma_f16 v62, v73, s22, v72
	v_add_f16_e32 v174, v179, v174
	v_mul_f16_e32 v179, 0x3a95, v150
	v_add_f16_e32 v60, v63, v60
	v_add_f16_e32 v62, v115, v62
	v_fma_f16 v63, v77, s27, v76
	v_fma_f16 v180, v149, s5, v179
	v_add_f16_e32 v62, v63, v62
	v_fma_f16 v63, v80, s19, v79
	v_add_f16_e32 v174, v180, v174
	v_mul_f16_e32 v180, 0x2fb7, v71
	v_add_f16_e32 v62, v63, v62
	v_fma_f16 v63, v101, s24, v82
	v_fma_f16 v181, v73, s20, v180
	v_mul_f16_e32 v182, 0xbbc4, v75
	v_add_f16_e32 v62, v63, v62
	v_fma_f16 v63, v129, s17, v128
	v_add_f16_e32 v181, v115, v181
	v_fma_f16 v183, v77, s26, v182
	;; [unrolled: 2-line block ×3, first 2 shown]
	v_add_f16_e32 v181, v183, v181
	v_mul_f16_e32 v183, 0xb5ac, v78
	v_add_f16_e32 v62, v63, v62
	v_fma_f16 v63, v133, s21, -v135
	v_fma_f16 v184, v80, s17, v183
	v_add_f16_e32 v60, v64, v60
	v_add_f16_e32 v63, v59, v63
	v_fma_f16 v64, v137, s4, -v139
	v_add_f16_e32 v181, v184, v181
	v_mul_f16_e32 v184, 0x3b15, v81
	v_add_f16_e32 v63, v64, v63
	v_fma_f16 v64, v140, s18, -v142
	v_fma_f16 v185, v101, s12, v184
	v_add_f16_e32 v63, v64, v63
	v_fma_f16 v64, v143, s5, -v145
	v_add_f16_e32 v181, v185, v181
	v_mul_f16_e32 v185, 0x388b, v127
	v_add_f16_e32 v63, v64, v63
	v_fma_f16 v64, v146, s16, -v148
	v_fma_f16 v186, v129, s24, v185
	v_add_f16_e32 v63, v64, v63
	v_fma_f16 v64, v149, s14, -v151
	v_add_f16_e32 v181, v186, v181
	v_mul_f16_e32 v186, 0xb9fd, v130
	v_add_f16_e32 v63, v64, v63
	v_fma_f16 v64, v73, s19, v152
	v_fma_f16 v187, v132, s23, v186
	v_add_f16_e32 v64, v115, v64
	v_fma_f16 v65, v77, s20, v154
	v_add_f16_e32 v181, v187, v181
	v_mul_f16_e32 v187, 0xbbf1, v134
	v_add_f16_e32 v64, v65, v64
	v_fma_f16 v65, v80, s13, v155
	v_fma_f16 v188, v133, s14, v187
	v_mul_f16_e32 v189, 0xb3a8, v138
	v_add_f16_e32 v64, v65, v64
	v_fma_f16 v65, v101, s26, v156
	v_add_f16_e32 v188, v59, v188
	v_fma_f16 v190, v137, s21, v189
	;; [unrolled: 2-line block ×3, first 2 shown]
	v_add_f16_e32 v188, v190, v188
	v_mul_f16_e32 v190, 0x3b7b, v141
	v_add_f16_e32 v64, v65, v64
	v_fma_f16 v65, v132, s17, v158
	v_fma_f16 v191, v140, s16, v190
	v_add_f16_e32 v64, v65, v64
	v_fma_f16 v65, v133, s18, -v159
	v_add_f16_e32 v188, v191, v188
	v_mul_f16_e32 v191, 0x3770, v144
	v_add_f16_e32 v65, v59, v65
	v_fma_f16 v66, v137, s14, -v161
	v_fma_f16 v192, v143, s4, v191
	v_add_f16_e32 v65, v66, v65
	v_fma_f16 v66, v140, s5, -v162
	v_add_f16_e32 v188, v192, v188
	v_mul_f16_e32 v192, 0xba95, v147
	v_add_f16_e32 v65, v66, v65
	v_fma_f16 v66, v143, s21, -v163
	;; [unrolled: 7-line block ×3, first 2 shown]
	v_fma_f16 v194, v149, s18, v193
	v_add_f16_e32 v65, v66, v65
	v_fma_f16 v66, v73, s17, v166
	v_add_f16_e32 v188, v194, v188
	v_mul_f16_e32 v194, 0x388b, v71
	v_add_f16_e32 v60, v67, v60
	v_add_f16_e32 v66, v115, v66
	v_fma_f16 v67, v77, s23, v168
	v_fma_f16 v195, v73, s24, v194
	v_mul_f16_e32 v196, 0xb5ac, v75
	v_add_f16_e32 v66, v67, v66
	v_fma_f16 v67, v80, s27, v169
	v_add_f16_e32 v195, v115, v195
	v_fma_f16 v197, v77, s25, v196
	;; [unrolled: 2-line block ×3, first 2 shown]
	v_add_f16_e32 v195, v197, v195
	v_mul_f16_e32 v197, 0xbbc4, v78
	v_add_f16_e32 v66, v67, v66
	v_fma_f16 v67, v129, s26, v171
	v_fma_f16 v198, v80, s26, v197
	v_add_f16_e32 v66, v67, v66
	v_fma_f16 v67, v132, s24, v172
	v_add_f16_e32 v195, v198, v195
	v_mul_f16_e32 v198, 0xb9fd, v81
	v_add_f16_e32 v66, v67, v66
	v_fma_f16 v67, v133, s16, -v173
	v_fma_f16 v199, v101, s19, v198
	v_add_f16_e32 v60, v68, v60
	v_add_f16_e32 v67, v59, v67
	v_fma_f16 v68, v137, s18, -v175
	v_add_f16_e32 v195, v199, v195
	v_mul_f16_e32 v199, 0x2fb7, v127
	v_add_f16_e32 v67, v68, v67
	v_fma_f16 v68, v140, s4, -v176
	v_fma_f16 v200, v129, s15, v199
	v_add_f16_e32 v67, v68, v67
	v_fma_f16 v68, v143, s14, -v177
	v_add_f16_e32 v195, v200, v195
	v_mul_f16_e32 v200, 0x3b15, v130
	v_add_f16_e32 v67, v68, v67
	v_fma_f16 v68, v146, s21, -v178
	v_fma_f16 v201, v132, s12, v200
	v_add_f16_e32 v67, v68, v67
	v_fma_f16 v68, v149, s5, -v179
	v_add_f16_e32 v195, v201, v195
	v_mul_f16_e32 v201, 0xba95, v134
	v_add_f16_e32 v67, v68, v67
	v_fma_f16 v68, v73, s15, v180
	v_fma_f16 v202, v133, s5, v201
	v_mul_f16_e32 v203, 0xbb7b, v138
	v_add_f16_e32 v60, v69, v60
	v_add_f16_e32 v68, v115, v68
	v_fma_f16 v69, v77, s22, v182
	v_add_f16_e32 v202, v59, v202
	v_fma_f16 v204, v137, s16, v203
	;; [unrolled: 2-line block ×3, first 2 shown]
	v_add_f16_e32 v202, v204, v202
	v_mul_f16_e32 v204, 0xb3a8, v141
	v_add_f16_e32 v68, v69, v68
	v_fma_f16 v69, v101, s27, v184
	v_fma_f16 v205, v140, s21, v204
	v_add_f16_e32 v68, v69, v68
	v_fma_f16 v69, v129, s13, v185
	v_add_f16_e32 v202, v205, v202
	v_mul_f16_e32 v205, 0x394e, v144
	v_add_f16_e32 v68, v69, v68
	v_fma_f16 v69, v132, s19, v186
	v_fma_f16 v206, v143, s18, v205
	v_add_f16_e32 v68, v69, v68
	v_fma_f16 v69, v133, s14, -v187
	v_add_f16_e32 v202, v206, v202
	v_mul_f16_e32 v206, 0x3bf1, v147
	v_add_f16_e32 v60, v70, v60
	v_add_f16_e32 v69, v59, v69
	v_fma_f16 v70, v137, s21, -v189
	v_fma_f16 v207, v146, s14, v206
	v_add_f16_e32 v69, v70, v69
	v_fma_f16 v70, v140, s16, -v190
	v_add_f16_e32 v202, v207, v202
	v_mul_f16_e32 v207, 0x3770, v150
	v_add_f16_e32 v69, v70, v69
	v_fma_f16 v70, v143, s4, -v191
	v_fma_f16 v208, v149, s4, v207
	v_mul_f16_e32 v71, 0x3b15, v71
	v_add_f16_e32 v69, v70, v69
	v_fma_f16 v70, v146, s5, -v192
	v_add_f16_e32 v202, v208, v202
	v_fma_f16 v208, v73, s27, v71
	v_mul_f16_e32 v75, 0x388b, v75
	v_add_f16_e32 v69, v70, v69
	v_fma_f16 v70, v149, s18, -v193
	v_add_f16_e32 v208, v115, v208
	v_fma_f16 v209, v77, s24, v75
	v_mul_f16_e32 v78, 0x2fb7, v78
	v_add_f16_e32 v61, v116, v115
	v_add_f16_e32 v69, v70, v69
	v_fma_f16 v70, v73, s13, v194
	v_fma_f16 v71, v73, s12, v71
	v_add_f16_e32 v208, v209, v208
	v_fma_f16 v209, v80, s20, v78
	v_mul_f16_e32 v81, 0xb5ac, v81
	v_add_f16_e32 v61, v117, v61
	v_add_f16_e32 v70, v115, v70
	v_fma_f16 v72, v77, s17, v196
	v_add_f16_e32 v71, v115, v71
	v_fma_f16 v73, v77, s13, v75
	v_add_f16_e32 v208, v209, v208
	v_fma_f16 v209, v101, s25, v81
	v_mul_f16_e32 v127, 0xb9fd, v127
	v_add_f16_e32 v61, v118, v61
	v_add_f16_e32 v70, v72, v70
	v_fma_f16 v72, v80, s22, v197
	v_add_f16_e32 v71, v73, v71
	;; [unrolled: 8-line block ×5, first 2 shown]
	v_fma_f16 v73, v132, s22, v130
	v_add_f16_e32 v209, v59, v209
	v_fma_f16 v210, v137, s5, v138
	v_mul_f16_e32 v141, 0xbbf1, v141
	v_add_f16_e32 v61, v122, v61
	v_add_f16_e32 v70, v72, v70
	v_fma_f16 v72, v133, s5, -v201
	v_add_f16_e32 v71, v73, v71
	v_fma_f16 v73, v133, s4, -v134
	v_add_f16_e32 v209, v210, v209
	v_fma_f16 v210, v140, s14, v141
	v_mul_f16_e32 v144, 0xbb7b, v144
	v_add_f16_e32 v61, v123, v61
	v_add_f16_e32 v72, v59, v72
	;; [unrolled: 1-line block ×3, first 2 shown]
	v_fma_f16 v73, v137, s5, -v138
	v_add_f16_e32 v209, v210, v209
	v_fma_f16 v210, v143, s16, v144
	v_mul_f16_e32 v147, 0xb94e, v147
	v_add_f16_e32 v61, v125, v61
	v_add_f16_e32 v59, v73, v59
	v_fma_f16 v73, v140, s14, -v141
	v_add_f16_e32 v209, v210, v209
	v_fma_f16 v210, v146, s18, v147
	v_mul_f16_e32 v150, 0xb3a8, v150
	v_add_f16_e32 v61, v126, v61
	v_add_f16_e32 v59, v73, v59
	v_fma_f16 v73, v143, s16, -v144
	v_add_f16_e32 v209, v210, v209
	v_fma_f16 v210, v149, s21, v150
	v_add_f16_e32 v61, v124, v61
	v_add_f16_e32 v59, v73, v59
	v_fma_f16 v73, v146, s18, -v147
	v_add_f16_e32 v209, v210, v209
	v_add_f16_e32 v60, v103, v60
	;; [unrolled: 1-line block ×3, first 2 shown]
	v_fma_f16 v76, v137, s16, -v203
	v_add_f16_e32 v59, v73, v59
	v_fma_f16 v73, v149, s21, -v150
	v_add_f16_e32 v72, v76, v72
	;; [unrolled: 2-line block ×3, first 2 shown]
	v_lshl_add_u32 v73, v100, 2, v98
	v_pack_b32_f16 v75, v209, v208
	v_pack_b32_f16 v60, v60, v61
	v_add_f16_e32 v72, v76, v72
	v_fma_f16 v76, v143, s18, -v205
	ds_write2_b32 v73, v60, v75 offset1:1
	v_pack_b32_f16 v60, v188, v181
	v_pack_b32_f16 v61, v202, v195
	v_add_f16_e32 v72, v76, v72
	v_fma_f16 v76, v146, s14, -v206
	ds_write2_b32 v73, v61, v60 offset0:2 offset1:3
	v_pack_b32_f16 v60, v160, v153
	v_pack_b32_f16 v61, v174, v167
	v_add_f16_e32 v72, v76, v72
	v_fma_f16 v76, v149, s4, -v207
	ds_write2_b32 v73, v61, v60 offset0:4 offset1:5
	v_pack_b32_f16 v60, v63, v62
	v_pack_b32_f16 v61, v136, v74
	v_add_f16_e32 v72, v76, v72
	ds_write2_b32 v73, v61, v60 offset0:6 offset1:7
	v_pack_b32_f16 v60, v67, v66
	v_pack_b32_f16 v61, v65, v64
	ds_write2_b32 v73, v61, v60 offset0:8 offset1:9
	v_pack_b32_f16 v60, v72, v70
	v_pack_b32_f16 v61, v69, v68
	;; [unrolled: 1-line block ×3, first 2 shown]
	ds_write2_b32 v73, v61, v60 offset0:10 offset1:11
	ds_write_b32 v73, v59 offset:48
.LBB0_13:
	s_or_b64 exec, exec, s[2:3]
	v_add_u32_e32 v63, 0x400, v83
	s_waitcnt lgkmcnt(0)
	s_barrier
	ds_read2_b32 v[66:67], v63 offset0:4 offset1:69
	v_add_u32_e32 v59, 0x800, v83
	ds_read2_b32 v[68:69], v59 offset0:138 offset1:203
	v_add_u32_e32 v61, 0xc00, v83
	;; [unrolled: 2-line block ×3, first 2 shown]
	s_waitcnt lgkmcnt(2)
	v_lshrrev_b32_e32 v98, 16, v67
	ds_read2_b32 v[72:73], v60 offset0:20 offset1:85
	v_mul_f16_sdwa v141, v0, v98 dst_sel:DWORD dst_unused:UNUSED_PAD src0_sel:WORD_1 src1_sel:DWORD
	s_waitcnt lgkmcnt(2)
	v_lshrrev_b32_e32 v117, 16, v68
	v_fma_f16 v141, v0, v67, v141
	v_mul_f16_sdwa v67, v0, v67 dst_sel:DWORD dst_unused:UNUSED_PAD src0_sel:WORD_1 src1_sel:DWORD
	ds_read2_b32 v[74:75], v63 offset0:134 offset1:199
	v_fma_f16 v0, v0, v98, -v67
	v_mul_f16_sdwa v67, v1, v117 dst_sel:DWORD dst_unused:UNUSED_PAD src0_sel:WORD_1 src1_sel:DWORD
	s_waitcnt lgkmcnt(2)
	v_lshrrev_b32_e32 v118, 16, v71
	v_fma_f16 v67, v1, v68, v67
	v_mul_f16_sdwa v68, v1, v68 dst_sel:DWORD dst_unused:UNUSED_PAD src0_sel:WORD_1 src1_sel:DWORD
	v_fma_f16 v1, v1, v117, -v68
	v_mul_f16_sdwa v68, v2, v118 dst_sel:DWORD dst_unused:UNUSED_PAD src0_sel:WORD_1 src1_sel:DWORD
	s_waitcnt lgkmcnt(1)
	v_lshrrev_b32_e32 v119, 16, v72
	v_add_u32_e32 v62, 0x1000, v83
	v_fma_f16 v68, v2, v71, v68
	v_mul_f16_sdwa v71, v2, v71 dst_sel:DWORD dst_unused:UNUSED_PAD src0_sel:WORD_1 src1_sel:DWORD
	ds_read2_b32 v[76:77], v62 offset0:16 offset1:81
	v_fma_f16 v2, v2, v118, -v71
	v_mul_f16_sdwa v71, v3, v119 dst_sel:DWORD dst_unused:UNUSED_PAD src0_sel:WORD_1 src1_sel:DWORD
	s_waitcnt lgkmcnt(1)
	v_lshrrev_b32_e32 v121, 16, v74
	v_fma_f16 v71, v3, v72, v71
	v_mul_f16_sdwa v72, v3, v72 dst_sel:DWORD dst_unused:UNUSED_PAD src0_sel:WORD_1 src1_sel:DWORD
	v_fma_f16 v3, v3, v119, -v72
	v_mul_f16_sdwa v72, v4, v121 dst_sel:DWORD dst_unused:UNUSED_PAD src0_sel:WORD_1 src1_sel:DWORD
	v_lshrrev_b32_e32 v122, 16, v69
	v_fma_f16 v72, v4, v74, v72
	v_mul_f16_sdwa v74, v4, v74 dst_sel:DWORD dst_unused:UNUSED_PAD src0_sel:WORD_1 src1_sel:DWORD
	v_fma_f16 v4, v4, v121, -v74
	v_mul_f16_sdwa v74, v5, v122 dst_sel:DWORD dst_unused:UNUSED_PAD src0_sel:WORD_1 src1_sel:DWORD
	s_waitcnt lgkmcnt(0)
	v_lshrrev_b32_e32 v123, 16, v76
	v_fma_f16 v74, v5, v69, v74
	v_mul_f16_sdwa v69, v5, v69 dst_sel:DWORD dst_unused:UNUSED_PAD src0_sel:WORD_1 src1_sel:DWORD
	ds_read2_b32 v[80:81], v61 offset0:12 offset1:77
	v_fma_f16 v5, v5, v122, -v69
	v_mul_f16_sdwa v69, v6, v123 dst_sel:DWORD dst_unused:UNUSED_PAD src0_sel:WORD_1 src1_sel:DWORD
	v_lshrrev_b32_e32 v124, 16, v73
	v_fma_f16 v69, v6, v76, v69
	v_mul_f16_sdwa v76, v6, v76 dst_sel:DWORD dst_unused:UNUSED_PAD src0_sel:WORD_1 src1_sel:DWORD
	v_fma_f16 v6, v6, v123, -v76
	v_mul_f16_sdwa v76, v7, v124 dst_sel:DWORD dst_unused:UNUSED_PAD src0_sel:WORD_1 src1_sel:DWORD
	v_lshrrev_b32_e32 v126, 16, v75
	v_fma_f16 v76, v7, v73, v76
	v_mul_f16_sdwa v73, v7, v73 dst_sel:DWORD dst_unused:UNUSED_PAD src0_sel:WORD_1 src1_sel:DWORD
	ds_read2_b32 v[100:101], v60 offset0:150 offset1:215
	v_fma_f16 v7, v7, v124, -v73
	v_mul_f16_sdwa v73, v8, v126 dst_sel:DWORD dst_unused:UNUSED_PAD src0_sel:WORD_1 src1_sel:DWORD
	s_waitcnt lgkmcnt(1)
	v_lshrrev_b32_e32 v127, 16, v80
	ds_read2_b32 v[102:103], v59 offset0:8 offset1:73
	v_fma_f16 v73, v8, v75, v73
	v_mul_f16_sdwa v75, v8, v75 dst_sel:DWORD dst_unused:UNUSED_PAD src0_sel:WORD_1 src1_sel:DWORD
	v_fma_f16 v8, v8, v126, -v75
	v_mul_f16_sdwa v75, v9, v127 dst_sel:DWORD dst_unused:UNUSED_PAD src0_sel:WORD_1 src1_sel:DWORD
	v_lshrrev_b32_e32 v128, 16, v77
	v_fma_f16 v75, v9, v80, v75
	v_mul_f16_sdwa v80, v9, v80 dst_sel:DWORD dst_unused:UNUSED_PAD src0_sel:WORD_1 src1_sel:DWORD
	ds_read2_b32 v[115:116], v62 offset0:146 offset1:211
	v_fma_f16 v9, v9, v127, -v80
	v_mul_f16_sdwa v80, v10, v128 dst_sel:DWORD dst_unused:UNUSED_PAD src0_sel:WORD_1 src1_sel:DWORD
	s_waitcnt lgkmcnt(2)
	v_lshrrev_b32_e32 v129, 16, v100
	v_fma_f16 v80, v10, v77, v80
	v_mul_f16_sdwa v77, v10, v77 dst_sel:DWORD dst_unused:UNUSED_PAD src0_sel:WORD_1 src1_sel:DWORD
	s_waitcnt lgkmcnt(1)
	v_lshrrev_b32_e32 v131, 16, v102
	v_fma_f16 v10, v10, v128, -v77
	v_mul_f16_sdwa v77, v11, v129 dst_sel:DWORD dst_unused:UNUSED_PAD src0_sel:WORD_1 src1_sel:DWORD
	v_mul_f16_sdwa v98, v11, v100 dst_sel:DWORD dst_unused:UNUSED_PAD src0_sel:WORD_1 src1_sel:DWORD
	v_lshrrev_b32_e32 v132, 16, v81
	v_fma_f16 v77, v11, v100, v77
	v_fma_f16 v11, v11, v129, -v98
	v_mul_f16_sdwa v98, v12, v131 dst_sel:DWORD dst_unused:UNUSED_PAD src0_sel:WORD_1 src1_sel:DWORD
	v_mul_f16_sdwa v100, v12, v102 dst_sel:DWORD dst_unused:UNUSED_PAD src0_sel:WORD_1 src1_sel:DWORD
	v_fma_f16 v98, v12, v102, v98
	v_fma_f16 v12, v12, v131, -v100
	v_mul_f16_sdwa v100, v13, v132 dst_sel:DWORD dst_unused:UNUSED_PAD src0_sel:WORD_1 src1_sel:DWORD
	s_waitcnt lgkmcnt(0)
	v_lshrrev_b32_e32 v133, 16, v115
	v_fma_f16 v100, v13, v81, v100
	v_mul_f16_sdwa v81, v13, v81 dst_sel:DWORD dst_unused:UNUSED_PAD src0_sel:WORD_1 src1_sel:DWORD
	v_lshrrev_b32_e32 v134, 16, v101
	v_fma_f16 v13, v13, v132, -v81
	v_mul_f16_sdwa v81, v14, v133 dst_sel:DWORD dst_unused:UNUSED_PAD src0_sel:WORD_1 src1_sel:DWORD
	v_mul_f16_sdwa v102, v14, v115 dst_sel:DWORD dst_unused:UNUSED_PAD src0_sel:WORD_1 src1_sel:DWORD
	ds_read2_b32 v[64:65], v83 offset1:65
	v_fma_f16 v81, v14, v115, v81
	v_fma_f16 v14, v14, v133, -v102
	v_mul_f16_sdwa v102, v15, v134 dst_sel:DWORD dst_unused:UNUSED_PAD src0_sel:WORD_1 src1_sel:DWORD
	ds_read_b32 v135, v83 offset:6240
	v_lshrrev_b32_e32 v137, 16, v103
	v_fma_f16 v102, v15, v101, v102
	v_mul_f16_sdwa v101, v15, v101 dst_sel:DWORD dst_unused:UNUSED_PAD src0_sel:WORD_1 src1_sel:DWORD
	v_fma_f16 v15, v15, v134, -v101
	v_mul_f16_sdwa v101, v16, v137 dst_sel:DWORD dst_unused:UNUSED_PAD src0_sel:WORD_1 src1_sel:DWORD
	v_lshrrev_b32_e32 v138, 16, v70
	v_fma_f16 v101, v16, v103, v101
	v_mul_f16_sdwa v103, v16, v103 dst_sel:DWORD dst_unused:UNUSED_PAD src0_sel:WORD_1 src1_sel:DWORD
	v_fma_f16 v16, v16, v137, -v103
	v_mul_f16_sdwa v103, v17, v138 dst_sel:DWORD dst_unused:UNUSED_PAD src0_sel:WORD_1 src1_sel:DWORD
	v_add_f16_e32 v117, v67, v68
	v_lshrrev_b32_e32 v139, 16, v116
	v_fma_f16 v103, v17, v70, v103
	v_mul_f16_sdwa v70, v17, v70 dst_sel:DWORD dst_unused:UNUSED_PAD src0_sel:WORD_1 src1_sel:DWORD
	s_waitcnt lgkmcnt(1)
	v_fma_f16 v117, v117, -0.5, v64
	v_sub_f16_e32 v118, v0, v3
	s_mov_b32 s3, 0xbb9c
	s_movk_i32 s5, 0x3b9c
	s_waitcnt lgkmcnt(0)
	v_lshrrev_b32_e32 v140, 16, v135
	v_fma_f16 v17, v17, v138, -v70
	v_mul_f16_sdwa v70, v18, v139 dst_sel:DWORD dst_unused:UNUSED_PAD src0_sel:WORD_1 src1_sel:DWORD
	v_mul_f16_sdwa v115, v18, v116 dst_sel:DWORD dst_unused:UNUSED_PAD src0_sel:WORD_1 src1_sel:DWORD
	v_fma_f16 v119, v118, s3, v117
	v_sub_f16_e32 v121, v1, v2
	s_mov_b32 s2, 0xb8b4
	v_sub_f16_e32 v122, v141, v67
	v_sub_f16_e32 v123, v71, v68
	v_fma_f16 v117, v118, s5, v117
	s_movk_i32 s12, 0x38b4
	v_fma_f16 v70, v18, v116, v70
	v_fma_f16 v18, v18, v139, -v115
	v_mul_f16_sdwa v115, v19, v140 dst_sel:DWORD dst_unused:UNUSED_PAD src0_sel:WORD_1 src1_sel:DWORD
	v_mul_f16_sdwa v116, v19, v135 dst_sel:DWORD dst_unused:UNUSED_PAD src0_sel:WORD_1 src1_sel:DWORD
	v_fma_f16 v119, v121, s2, v119
	v_add_f16_e32 v122, v122, v123
	s_movk_i32 s4, 0x34f2
	v_fma_f16 v117, v121, s12, v117
	v_fma_f16 v115, v19, v135, v115
	v_fma_f16 v19, v19, v140, -v116
	v_add_f16_e32 v116, v64, v141
	v_fma_f16 v119, v122, s4, v119
	v_fma_f16 v117, v122, s4, v117
	v_add_f16_e32 v122, v141, v71
	v_lshrrev_b32_e32 v82, 16, v64
	v_add_f16_e32 v116, v116, v67
	v_fma_f16 v64, v122, -0.5, v64
	v_add_f16_e32 v116, v116, v68
	v_fma_f16 v122, v121, s5, v64
	v_sub_f16_e32 v123, v67, v141
	v_sub_f16_e32 v124, v68, v71
	v_fma_f16 v64, v121, s3, v64
	v_add_f16_e32 v121, v1, v2
	v_add_f16_e32 v116, v116, v71
	v_fma_f16 v122, v118, s2, v122
	v_add_f16_e32 v123, v123, v124
	v_fma_f16 v64, v118, s12, v64
	v_fma_f16 v121, v121, -0.5, v82
	v_sub_f16_e32 v71, v141, v71
	v_fma_f16 v122, v123, s4, v122
	v_fma_f16 v64, v123, s4, v64
	v_fma_f16 v123, v71, s5, v121
	v_sub_f16_e32 v67, v67, v68
	v_fma_f16 v68, v67, s12, v123
	v_sub_f16_e32 v123, v0, v1
	v_sub_f16_e32 v124, v3, v2
	v_fma_f16 v121, v71, s3, v121
	v_add_f16_e32 v118, v82, v0
	v_add_f16_e32 v123, v123, v124
	v_fma_f16 v121, v67, s2, v121
	v_add_f16_e32 v118, v118, v1
	v_fma_f16 v68, v123, s4, v68
	v_fma_f16 v121, v123, s4, v121
	v_add_f16_e32 v123, v0, v3
	v_add_f16_e32 v118, v118, v2
	v_fma_f16 v82, v123, -0.5, v82
	v_add_f16_e32 v118, v118, v3
	v_fma_f16 v123, v67, s3, v82
	v_sub_f16_e32 v0, v1, v0
	v_sub_f16_e32 v1, v2, v3
	v_add_f16_e32 v3, v74, v69
	v_fma_f16 v123, v71, s12, v123
	v_add_f16_e32 v0, v0, v1
	v_fma_f16 v2, v67, s5, v82
	v_fma_f16 v3, v3, -0.5, v65
	v_sub_f16_e32 v67, v4, v7
	v_fma_f16 v1, v0, s4, v123
	v_fma_f16 v2, v71, s2, v2
	;; [unrolled: 1-line block ×3, first 2 shown]
	v_sub_f16_e32 v82, v5, v6
	v_sub_f16_e32 v123, v72, v74
	v_sub_f16_e32 v124, v76, v69
	v_fma_f16 v3, v67, s5, v3
	v_fma_f16 v71, v82, s2, v71
	v_add_f16_e32 v123, v123, v124
	v_fma_f16 v3, v82, s12, v3
	v_fma_f16 v71, v123, s4, v71
	;; [unrolled: 1-line block ×3, first 2 shown]
	v_add_f16_e32 v123, v72, v76
	v_lshrrev_b32_e32 v120, 16, v65
	v_fma_f16 v0, v0, s4, v2
	v_add_f16_e32 v2, v65, v72
	v_fma_f16 v65, v123, -0.5, v65
	v_add_f16_e32 v2, v2, v74
	v_fma_f16 v123, v82, s5, v65
	v_fma_f16 v65, v82, s3, v65
	v_add_f16_e32 v82, v5, v6
	v_add_f16_e32 v2, v2, v69
	v_sub_f16_e32 v124, v74, v72
	v_sub_f16_e32 v126, v69, v76
	v_fma_f16 v82, v82, -0.5, v120
	v_sub_f16_e32 v72, v72, v76
	v_add_f16_e32 v2, v2, v76
	v_fma_f16 v123, v67, s2, v123
	v_add_f16_e32 v124, v124, v126
	v_fma_f16 v65, v67, s12, v65
	v_fma_f16 v76, v72, s5, v82
	v_sub_f16_e32 v69, v74, v69
	ds_read2_b32 v[78:79], v83 offset0:130 offset1:195
	v_fma_f16 v123, v124, s4, v123
	v_fma_f16 v65, v124, s4, v65
	;; [unrolled: 1-line block ×3, first 2 shown]
	v_sub_f16_e32 v76, v4, v5
	v_sub_f16_e32 v124, v7, v6
	v_fma_f16 v82, v72, s3, v82
	v_add_f16_e32 v67, v120, v4
	v_add_f16_e32 v76, v76, v124
	v_fma_f16 v82, v69, s2, v82
	v_add_f16_e32 v67, v67, v5
	v_fma_f16 v74, v76, s4, v74
	v_fma_f16 v76, v76, s4, v82
	v_add_f16_e32 v82, v4, v7
	v_add_f16_e32 v67, v67, v6
	v_fma_f16 v82, v82, -0.5, v120
	v_add_f16_e32 v67, v67, v7
	v_fma_f16 v120, v69, s3, v82
	v_sub_f16_e32 v4, v5, v4
	v_sub_f16_e32 v5, v6, v7
	v_add_f16_e32 v7, v75, v80
	v_fma_f16 v120, v72, s12, v120
	v_add_f16_e32 v4, v4, v5
	v_fma_f16 v6, v69, s5, v82
	s_waitcnt lgkmcnt(0)
	v_fma_f16 v7, v7, -0.5, v78
	v_sub_f16_e32 v69, v8, v11
	v_fma_f16 v5, v4, s4, v120
	v_fma_f16 v6, v72, s2, v6
	;; [unrolled: 1-line block ×3, first 2 shown]
	v_sub_f16_e32 v82, v9, v10
	v_sub_f16_e32 v120, v73, v75
	;; [unrolled: 1-line block ×3, first 2 shown]
	v_fma_f16 v7, v69, s5, v7
	v_fma_f16 v72, v82, s2, v72
	v_add_f16_e32 v120, v120, v124
	v_fma_f16 v7, v82, s12, v7
	v_fma_f16 v72, v120, s4, v72
	;; [unrolled: 1-line block ×3, first 2 shown]
	v_add_f16_e32 v120, v73, v77
	v_lshrrev_b32_e32 v125, 16, v78
	v_fma_f16 v4, v4, s4, v6
	v_add_f16_e32 v6, v78, v73
	v_fma_f16 v78, v120, -0.5, v78
	v_add_f16_e32 v6, v6, v75
	v_fma_f16 v120, v82, s5, v78
	v_sub_f16_e32 v124, v75, v73
	v_sub_f16_e32 v126, v80, v77
	v_fma_f16 v78, v82, s3, v78
	v_add_f16_e32 v82, v9, v10
	v_add_f16_e32 v6, v6, v80
	v_fma_f16 v120, v69, s2, v120
	v_add_f16_e32 v124, v124, v126
	v_fma_f16 v69, v69, s12, v78
	v_fma_f16 v82, v82, -0.5, v125
	v_sub_f16_e32 v73, v73, v77
	v_add_f16_e32 v6, v6, v77
	v_fma_f16 v120, v124, s4, v120
	v_fma_f16 v69, v124, s4, v69
	;; [unrolled: 1-line block ×3, first 2 shown]
	v_sub_f16_e32 v75, v75, v80
	v_sub_f16_e32 v80, v8, v9
	;; [unrolled: 1-line block ×3, first 2 shown]
	v_fma_f16 v82, v73, s3, v82
	v_add_f16_e32 v78, v125, v8
	v_fma_f16 v77, v75, s12, v77
	v_add_f16_e32 v80, v80, v124
	;; [unrolled: 2-line block ×3, first 2 shown]
	v_fma_f16 v77, v80, s4, v77
	v_fma_f16 v80, v80, s4, v82
	v_add_f16_e32 v82, v8, v11
	v_add_f16_e32 v78, v78, v10
	v_fma_f16 v82, v82, -0.5, v125
	v_add_f16_e32 v78, v78, v11
	v_fma_f16 v124, v75, s3, v82
	v_sub_f16_e32 v8, v9, v8
	v_sub_f16_e32 v9, v10, v11
	v_fma_f16 v10, v75, s5, v82
	v_add_f16_e32 v11, v100, v81
	v_fma_f16 v124, v73, s12, v124
	v_add_f16_e32 v8, v8, v9
	v_fma_f16 v10, v73, s2, v10
	v_fma_f16 v11, v11, -0.5, v79
	v_sub_f16_e32 v73, v12, v15
	v_fma_f16 v9, v8, s4, v124
	v_fma_f16 v75, v73, s3, v11
	v_sub_f16_e32 v82, v13, v14
	v_sub_f16_e32 v124, v98, v100
	;; [unrolled: 1-line block ×3, first 2 shown]
	v_fma_f16 v11, v73, s5, v11
	v_fma_f16 v75, v82, s2, v75
	v_add_f16_e32 v124, v124, v125
	v_fma_f16 v11, v82, s12, v11
	v_fma_f16 v75, v124, s4, v75
	;; [unrolled: 1-line block ×3, first 2 shown]
	v_add_f16_e32 v124, v98, v102
	v_lshrrev_b32_e32 v130, 16, v79
	v_fma_f16 v8, v8, s4, v10
	v_add_f16_e32 v10, v79, v98
	v_fma_f16 v79, v124, -0.5, v79
	v_add_f16_e32 v10, v10, v100
	v_fma_f16 v124, v82, s5, v79
	v_fma_f16 v79, v82, s3, v79
	v_add_f16_e32 v82, v13, v14
	v_add_f16_e32 v10, v10, v81
	v_sub_f16_e32 v125, v100, v98
	v_sub_f16_e32 v126, v81, v102
	v_fma_f16 v82, v82, -0.5, v130
	v_sub_f16_e32 v98, v98, v102
	v_add_f16_e32 v10, v10, v102
	v_fma_f16 v124, v73, s2, v124
	v_add_f16_e32 v125, v125, v126
	v_fma_f16 v73, v73, s12, v79
	v_fma_f16 v102, v98, s5, v82
	v_sub_f16_e32 v81, v100, v81
	v_fma_f16 v124, v125, s4, v124
	v_fma_f16 v73, v125, s4, v73
	;; [unrolled: 1-line block ×3, first 2 shown]
	v_sub_f16_e32 v102, v12, v13
	v_sub_f16_e32 v125, v15, v14
	v_fma_f16 v82, v98, s3, v82
	v_add_f16_e32 v79, v130, v12
	v_add_f16_e32 v102, v102, v125
	v_fma_f16 v82, v81, s2, v82
	v_add_f16_e32 v79, v79, v13
	v_fma_f16 v100, v102, s4, v100
	v_fma_f16 v82, v102, s4, v82
	v_add_f16_e32 v102, v12, v15
	v_add_f16_e32 v79, v79, v14
	v_fma_f16 v102, v102, -0.5, v130
	v_add_f16_e32 v79, v79, v15
	v_fma_f16 v125, v81, s3, v102
	v_sub_f16_e32 v12, v13, v12
	v_sub_f16_e32 v13, v14, v15
	v_add_f16_e32 v15, v103, v70
	v_fma_f16 v125, v98, s12, v125
	v_add_f16_e32 v12, v12, v13
	v_fma_f16 v14, v81, s5, v102
	v_fma_f16 v15, v15, -0.5, v66
	v_sub_f16_e32 v81, v16, v19
	v_fma_f16 v13, v12, s4, v125
	v_fma_f16 v14, v98, s2, v14
	;; [unrolled: 1-line block ×3, first 2 shown]
	v_sub_f16_e32 v102, v17, v18
	v_sub_f16_e32 v125, v101, v103
	v_sub_f16_e32 v126, v115, v70
	v_fma_f16 v15, v81, s5, v15
	v_fma_f16 v98, v102, s2, v98
	v_add_f16_e32 v125, v125, v126
	v_fma_f16 v15, v102, s12, v15
	v_fma_f16 v98, v125, s4, v98
	;; [unrolled: 1-line block ×3, first 2 shown]
	v_add_f16_e32 v125, v101, v115
	v_lshrrev_b32_e32 v136, 16, v66
	v_fma_f16 v12, v12, s4, v14
	v_add_f16_e32 v14, v66, v101
	v_fma_f16 v66, v125, -0.5, v66
	v_add_f16_e32 v14, v14, v103
	v_fma_f16 v125, v102, s5, v66
	v_fma_f16 v66, v102, s3, v66
	v_add_f16_e32 v102, v17, v18
	v_add_f16_e32 v14, v14, v70
	v_sub_f16_e32 v126, v103, v101
	v_sub_f16_e32 v127, v70, v115
	v_fma_f16 v102, v102, -0.5, v136
	v_sub_f16_e32 v101, v101, v115
	v_add_f16_e32 v14, v14, v115
	v_fma_f16 v125, v81, s2, v125
	v_add_f16_e32 v126, v126, v127
	v_fma_f16 v66, v81, s12, v66
	v_fma_f16 v115, v101, s5, v102
	v_sub_f16_e32 v70, v103, v70
	v_fma_f16 v125, v126, s4, v125
	v_fma_f16 v66, v126, s4, v66
	;; [unrolled: 1-line block ×3, first 2 shown]
	v_sub_f16_e32 v115, v16, v17
	v_sub_f16_e32 v126, v19, v18
	v_fma_f16 v102, v101, s3, v102
	v_add_f16_e32 v115, v115, v126
	v_fma_f16 v102, v70, s2, v102
	v_add_f16_e32 v81, v136, v16
	v_fma_f16 v103, v115, s4, v103
	v_fma_f16 v102, v115, s4, v102
	v_add_f16_e32 v115, v16, v19
	v_add_f16_e32 v81, v81, v17
	v_fma_f16 v115, v115, -0.5, v136
	v_add_f16_e32 v81, v81, v18
	v_fma_f16 v126, v70, s3, v115
	v_sub_f16_e32 v16, v17, v16
	v_sub_f16_e32 v17, v18, v19
	v_fma_f16 v18, v70, s5, v115
	v_pack_b32_f16 v1, v122, v1
	v_pack_b32_f16 v0, v64, v0
	v_fma_f16 v126, v101, s12, v126
	v_add_f16_e32 v16, v16, v17
	v_fma_f16 v18, v101, s2, v18
	s_barrier
	ds_write2_b32 v104, v1, v0 offset0:26 offset1:39
	v_pack_b32_f16 v0, v117, v121
	v_add_f16_e32 v81, v81, v19
	v_fma_f16 v17, v16, s4, v126
	v_fma_f16 v16, v16, s4, v18
	v_pack_b32_f16 v18, v116, v118
	v_pack_b32_f16 v19, v119, v68
	ds_write_b32 v104, v0 offset:208
	v_pack_b32_f16 v0, v2, v67
	v_pack_b32_f16 v1, v71, v74
	ds_write2_b32 v104, v18, v19 offset1:13
	ds_write2_b32 v105, v0, v1 offset1:13
	v_pack_b32_f16 v0, v123, v5
	v_pack_b32_f16 v1, v65, v4
	ds_write2_b32 v105, v0, v1 offset0:26 offset1:39
	v_pack_b32_f16 v0, v3, v76
	ds_write_b32 v105, v0 offset:208
	v_pack_b32_f16 v0, v6, v78
	v_pack_b32_f16 v1, v72, v77
	ds_write2_b32 v106, v0, v1 offset1:13
	v_pack_b32_f16 v0, v120, v9
	v_pack_b32_f16 v1, v69, v8
	ds_write2_b32 v106, v0, v1 offset0:26 offset1:39
	v_pack_b32_f16 v0, v7, v80
	ds_write_b32 v106, v0 offset:208
	v_pack_b32_f16 v0, v10, v79
	v_pack_b32_f16 v1, v75, v100
	;; [unrolled: 8-line block ×3, first 2 shown]
	ds_write2_b32 v108, v0, v1 offset1:13
	v_pack_b32_f16 v0, v125, v17
	v_pack_b32_f16 v1, v66, v16
	ds_write2_b32 v108, v0, v1 offset0:26 offset1:39
	v_pack_b32_f16 v0, v15, v102
	ds_write_b32 v108, v0 offset:208
	s_waitcnt lgkmcnt(0)
	s_barrier
	ds_read2_b32 v[0:1], v83 offset1:65
	ds_read2_b32 v[2:3], v63 offset0:4 offset1:69
	ds_read2_b32 v[4:5], v59 offset0:138 offset1:203
	;; [unrolled: 1-line block ×6, first 2 shown]
	s_waitcnt lgkmcnt(5)
	v_lshrrev_b32_e32 v69, 16, v3
	v_mul_f16_sdwa v116, v20, v69 dst_sel:DWORD dst_unused:UNUSED_PAD src0_sel:WORD_1 src1_sel:DWORD
	s_waitcnt lgkmcnt(4)
	v_lshrrev_b32_e32 v70, 16, v4
	v_fma_f16 v116, v20, v3, v116
	v_mul_f16_sdwa v3, v20, v3 dst_sel:DWORD dst_unused:UNUSED_PAD src0_sel:WORD_1 src1_sel:DWORD
	v_fma_f16 v3, v20, v69, -v3
	v_mul_f16_sdwa v69, v21, v70 dst_sel:DWORD dst_unused:UNUSED_PAD src0_sel:WORD_1 src1_sel:DWORD
	s_waitcnt lgkmcnt(3)
	v_lshrrev_b32_e32 v71, 16, v7
	v_fma_f16 v69, v21, v4, v69
	v_mul_f16_sdwa v4, v21, v4 dst_sel:DWORD dst_unused:UNUSED_PAD src0_sel:WORD_1 src1_sel:DWORD
	v_fma_f16 v4, v21, v70, -v4
	;; [unrolled: 6-line block ×4, first 2 shown]
	v_mul_f16_sdwa v72, v20, v74 dst_sel:DWORD dst_unused:UNUSED_PAD src0_sel:WORD_1 src1_sel:DWORD
	v_lshrrev_b32_e32 v75, 16, v5
	v_fma_f16 v72, v20, v10, v72
	v_mul_f16_sdwa v10, v20, v10 dst_sel:DWORD dst_unused:UNUSED_PAD src0_sel:WORD_1 src1_sel:DWORD
	v_fma_f16 v10, v20, v74, -v10
	v_mul_f16_sdwa v20, v21, v75 dst_sel:DWORD dst_unused:UNUSED_PAD src0_sel:WORD_1 src1_sel:DWORD
	s_waitcnt lgkmcnt(0)
	v_lshrrev_b32_e32 v76, 16, v12
	v_fma_f16 v20, v21, v5, v20
	v_mul_f16_sdwa v5, v21, v5 dst_sel:DWORD dst_unused:UNUSED_PAD src0_sel:WORD_1 src1_sel:DWORD
	ds_read2_b32 v[16:17], v61 offset0:12 offset1:77
	v_fma_f16 v5, v21, v75, -v5
	v_mul_f16_sdwa v21, v22, v76 dst_sel:DWORD dst_unused:UNUSED_PAD src0_sel:WORD_1 src1_sel:DWORD
	v_lshrrev_b32_e32 v77, 16, v9
	v_fma_f16 v21, v22, v12, v21
	v_mul_f16_sdwa v12, v22, v12 dst_sel:DWORD dst_unused:UNUSED_PAD src0_sel:WORD_1 src1_sel:DWORD
	v_fma_f16 v12, v22, v76, -v12
	v_mul_f16_sdwa v22, v23, v77 dst_sel:DWORD dst_unused:UNUSED_PAD src0_sel:WORD_1 src1_sel:DWORD
	v_lshrrev_b32_e32 v79, 16, v11
	v_fma_f16 v22, v23, v9, v22
	v_mul_f16_sdwa v9, v23, v9 dst_sel:DWORD dst_unused:UNUSED_PAD src0_sel:WORD_1 src1_sel:DWORD
	ds_read2_b32 v[18:19], v60 offset0:150 offset1:215
	v_fma_f16 v9, v23, v77, -v9
	v_mul_f16_sdwa v23, v24, v79 dst_sel:DWORD dst_unused:UNUSED_PAD src0_sel:WORD_1 src1_sel:DWORD
	s_waitcnt lgkmcnt(1)
	v_lshrrev_b32_e32 v80, 16, v16
	v_fma_f16 v23, v24, v11, v23
	v_mul_f16_sdwa v11, v24, v11 dst_sel:DWORD dst_unused:UNUSED_PAD src0_sel:WORD_1 src1_sel:DWORD
	ds_read2_b32 v[64:65], v59 offset0:8 offset1:73
	v_fma_f16 v11, v24, v79, -v11
	v_mul_f16_sdwa v24, v25, v80 dst_sel:DWORD dst_unused:UNUSED_PAD src0_sel:WORD_1 src1_sel:DWORD
	v_lshrrev_b32_e32 v81, 16, v13
	v_fma_f16 v24, v25, v16, v24
	v_mul_f16_sdwa v16, v25, v16 dst_sel:DWORD dst_unused:UNUSED_PAD src0_sel:WORD_1 src1_sel:DWORD
	v_fma_f16 v16, v25, v80, -v16
	v_mul_f16_sdwa v25, v26, v81 dst_sel:DWORD dst_unused:UNUSED_PAD src0_sel:WORD_1 src1_sel:DWORD
	s_waitcnt lgkmcnt(1)
	v_lshrrev_b32_e32 v82, 16, v18
	v_fma_f16 v25, v26, v13, v25
	v_mul_f16_sdwa v13, v26, v13 dst_sel:DWORD dst_unused:UNUSED_PAD src0_sel:WORD_1 src1_sel:DWORD
	ds_read2_b32 v[66:67], v62 offset0:146 offset1:211
	v_fma_f16 v13, v26, v81, -v13
	v_mul_f16_sdwa v26, v27, v82 dst_sel:DWORD dst_unused:UNUSED_PAD src0_sel:WORD_1 src1_sel:DWORD
	s_waitcnt lgkmcnt(1)
	v_lshrrev_b32_e32 v100, 16, v64
	v_fma_f16 v26, v27, v18, v26
	v_mul_f16_sdwa v18, v27, v18 dst_sel:DWORD dst_unused:UNUSED_PAD src0_sel:WORD_1 src1_sel:DWORD
	v_fma_f16 v18, v27, v82, -v18
	v_mul_f16_sdwa v27, v28, v100 dst_sel:DWORD dst_unused:UNUSED_PAD src0_sel:WORD_1 src1_sel:DWORD
	v_lshrrev_b32_e32 v101, 16, v17
	v_fma_f16 v27, v28, v64, v27
	v_mul_f16_sdwa v64, v28, v64 dst_sel:DWORD dst_unused:UNUSED_PAD src0_sel:WORD_1 src1_sel:DWORD
	v_fma_f16 v28, v28, v100, -v64
	v_mul_f16_sdwa v64, v29, v101 dst_sel:DWORD dst_unused:UNUSED_PAD src0_sel:WORD_1 src1_sel:DWORD
	s_waitcnt lgkmcnt(0)
	v_lshrrev_b32_e32 v102, 16, v66
	v_fma_f16 v64, v29, v17, v64
	v_mul_f16_sdwa v17, v29, v17 dst_sel:DWORD dst_unused:UNUSED_PAD src0_sel:WORD_1 src1_sel:DWORD
	v_fma_f16 v17, v29, v101, -v17
	v_mul_f16_sdwa v29, v30, v102 dst_sel:DWORD dst_unused:UNUSED_PAD src0_sel:WORD_1 src1_sel:DWORD
	v_lshrrev_b32_e32 v103, 16, v19
	v_fma_f16 v29, v30, v66, v29
	v_mul_f16_sdwa v66, v30, v66 dst_sel:DWORD dst_unused:UNUSED_PAD src0_sel:WORD_1 src1_sel:DWORD
	v_fma_f16 v30, v30, v102, -v66
	v_mul_f16_sdwa v66, v31, v103 dst_sel:DWORD dst_unused:UNUSED_PAD src0_sel:WORD_1 src1_sel:DWORD
	v_lshrrev_b32_e32 v106, 16, v65
	v_fma_f16 v66, v31, v19, v66
	v_mul_f16_sdwa v19, v31, v19 dst_sel:DWORD dst_unused:UNUSED_PAD src0_sel:WORD_1 src1_sel:DWORD
	ds_read_b32 v104, v83 offset:6240
	v_fma_f16 v19, v31, v103, -v19
	v_mul_f16_sdwa v31, v32, v106 dst_sel:DWORD dst_unused:UNUSED_PAD src0_sel:WORD_1 src1_sel:DWORD
	v_lshrrev_b32_e32 v107, 16, v6
	v_fma_f16 v31, v32, v65, v31
	v_mul_f16_sdwa v65, v32, v65 dst_sel:DWORD dst_unused:UNUSED_PAD src0_sel:WORD_1 src1_sel:DWORD
	v_fma_f16 v32, v32, v106, -v65
	v_mul_f16_sdwa v65, v33, v107 dst_sel:DWORD dst_unused:UNUSED_PAD src0_sel:WORD_1 src1_sel:DWORD
	v_lshrrev_b32_e32 v108, 16, v67
	v_fma_f16 v65, v33, v6, v65
	v_mul_f16_sdwa v6, v33, v6 dst_sel:DWORD dst_unused:UNUSED_PAD src0_sel:WORD_1 src1_sel:DWORD
	v_add_f16_e32 v75, v69, v70
	v_fma_f16 v6, v33, v107, -v6
	v_mul_f16_sdwa v33, v34, v108 dst_sel:DWORD dst_unused:UNUSED_PAD src0_sel:WORD_1 src1_sel:DWORD
	v_fma_f16 v75, v75, -0.5, v0
	v_sub_f16_e32 v76, v3, v8
	s_waitcnt lgkmcnt(0)
	v_lshrrev_b32_e32 v115, 16, v104
	v_fma_f16 v33, v34, v67, v33
	v_mul_f16_sdwa v67, v34, v67 dst_sel:DWORD dst_unused:UNUSED_PAD src0_sel:WORD_1 src1_sel:DWORD
	v_fma_f16 v77, v76, s3, v75
	v_sub_f16_e32 v79, v4, v7
	v_sub_f16_e32 v80, v116, v69
	;; [unrolled: 1-line block ×3, first 2 shown]
	v_fma_f16 v75, v76, s5, v75
	v_fma_f16 v34, v34, v108, -v67
	v_mul_f16_sdwa v67, v35, v115 dst_sel:DWORD dst_unused:UNUSED_PAD src0_sel:WORD_1 src1_sel:DWORD
	v_mul_f16_sdwa v74, v35, v104 dst_sel:DWORD dst_unused:UNUSED_PAD src0_sel:WORD_1 src1_sel:DWORD
	v_fma_f16 v77, v79, s2, v77
	v_add_f16_e32 v80, v80, v81
	v_fma_f16 v75, v79, s12, v75
	v_fma_f16 v67, v35, v104, v67
	v_fma_f16 v35, v35, v115, -v74
	v_add_f16_e32 v74, v0, v116
	v_fma_f16 v77, v80, s4, v77
	v_fma_f16 v75, v80, s4, v75
	v_add_f16_e32 v80, v116, v71
	v_lshrrev_b32_e32 v68, 16, v0
	v_add_f16_e32 v74, v74, v69
	v_fma_f16 v0, v80, -0.5, v0
	v_add_f16_e32 v74, v74, v70
	v_fma_f16 v80, v79, s5, v0
	v_sub_f16_e32 v81, v69, v116
	v_sub_f16_e32 v82, v70, v71
	v_fma_f16 v0, v79, s3, v0
	v_add_f16_e32 v79, v4, v7
	v_add_f16_e32 v74, v74, v71
	v_fma_f16 v80, v76, s2, v80
	v_add_f16_e32 v81, v81, v82
	v_fma_f16 v0, v76, s12, v0
	v_fma_f16 v79, v79, -0.5, v68
	v_sub_f16_e32 v71, v116, v71
	v_fma_f16 v80, v81, s4, v80
	v_fma_f16 v0, v81, s4, v0
	;; [unrolled: 1-line block ×3, first 2 shown]
	v_sub_f16_e32 v69, v69, v70
	v_fma_f16 v70, v69, s12, v81
	v_sub_f16_e32 v81, v3, v4
	v_sub_f16_e32 v82, v8, v7
	v_fma_f16 v79, v71, s3, v79
	v_add_f16_e32 v76, v68, v3
	v_add_f16_e32 v81, v81, v82
	v_fma_f16 v79, v69, s2, v79
	v_add_f16_e32 v76, v76, v4
	v_fma_f16 v70, v81, s4, v70
	v_fma_f16 v79, v81, s4, v79
	v_add_f16_e32 v81, v3, v8
	v_add_f16_e32 v76, v76, v7
	v_fma_f16 v68, v81, -0.5, v68
	v_add_f16_e32 v76, v76, v8
	v_fma_f16 v81, v69, s3, v68
	v_sub_f16_e32 v3, v4, v3
	v_sub_f16_e32 v4, v7, v8
	v_add_f16_e32 v8, v20, v21
	v_fma_f16 v81, v71, s12, v81
	v_add_f16_e32 v3, v3, v4
	v_fma_f16 v7, v69, s5, v68
	v_fma_f16 v8, v8, -0.5, v1
	v_sub_f16_e32 v68, v10, v9
	v_fma_f16 v4, v3, s4, v81
	v_fma_f16 v7, v71, s2, v7
	;; [unrolled: 1-line block ×3, first 2 shown]
	v_sub_f16_e32 v71, v5, v12
	v_sub_f16_e32 v81, v72, v20
	;; [unrolled: 1-line block ×3, first 2 shown]
	v_fma_f16 v8, v68, s5, v8
	v_fma_f16 v69, v71, s2, v69
	v_add_f16_e32 v81, v81, v82
	v_fma_f16 v8, v71, s12, v8
	v_fma_f16 v3, v3, s4, v7
	v_add_f16_e32 v7, v1, v72
	;; [unrolled: 3-line block ×3, first 2 shown]
	v_lshrrev_b32_e32 v73, 16, v1
	v_add_f16_e32 v7, v7, v20
	v_fma_f16 v1, v81, -0.5, v1
	v_add_f16_e32 v7, v7, v21
	v_fma_f16 v81, v71, s5, v1
	v_fma_f16 v1, v71, s3, v1
	v_add_f16_e32 v71, v5, v12
	v_add_f16_e32 v7, v7, v22
	v_sub_f16_e32 v82, v20, v72
	v_sub_f16_e32 v100, v21, v22
	v_fma_f16 v71, v71, -0.5, v73
	v_sub_f16_e32 v22, v72, v22
	v_fma_f16 v81, v68, s2, v81
	v_add_f16_e32 v82, v82, v100
	v_fma_f16 v1, v68, s12, v1
	v_fma_f16 v72, v22, s5, v71
	v_sub_f16_e32 v20, v20, v21
	ds_read2_b32 v[14:15], v83 offset0:130 offset1:195
	v_fma_f16 v81, v82, s4, v81
	v_fma_f16 v1, v82, s4, v1
	;; [unrolled: 1-line block ×3, first 2 shown]
	v_sub_f16_e32 v72, v10, v5
	v_sub_f16_e32 v82, v9, v12
	v_fma_f16 v71, v22, s3, v71
	v_add_f16_e32 v68, v73, v10
	v_add_f16_e32 v72, v72, v82
	v_fma_f16 v71, v20, s2, v71
	v_add_f16_e32 v68, v68, v5
	v_fma_f16 v21, v72, s4, v21
	v_fma_f16 v71, v72, s4, v71
	v_add_f16_e32 v72, v10, v9
	v_add_f16_e32 v68, v68, v12
	v_fma_f16 v72, v72, -0.5, v73
	v_add_f16_e32 v68, v68, v9
	v_fma_f16 v73, v20, s3, v72
	v_sub_f16_e32 v5, v5, v10
	v_sub_f16_e32 v9, v12, v9
	v_add_f16_e32 v12, v24, v25
	v_fma_f16 v73, v22, s12, v73
	v_add_f16_e32 v5, v5, v9
	v_fma_f16 v10, v20, s5, v72
	s_waitcnt lgkmcnt(0)
	v_fma_f16 v12, v12, -0.5, v14
	v_sub_f16_e32 v20, v11, v18
	v_fma_f16 v9, v5, s4, v73
	v_fma_f16 v10, v22, s2, v10
	v_fma_f16 v22, v20, s3, v12
	v_sub_f16_e32 v72, v16, v13
	v_sub_f16_e32 v73, v23, v24
	;; [unrolled: 1-line block ×3, first 2 shown]
	v_fma_f16 v12, v20, s5, v12
	v_fma_f16 v22, v72, s2, v22
	v_add_f16_e32 v73, v73, v82
	v_fma_f16 v12, v72, s12, v12
	v_fma_f16 v22, v73, s4, v22
	;; [unrolled: 1-line block ×3, first 2 shown]
	v_add_f16_e32 v73, v23, v26
	v_lshrrev_b32_e32 v78, 16, v14
	v_fma_f16 v5, v5, s4, v10
	v_add_f16_e32 v10, v14, v23
	v_fma_f16 v14, v73, -0.5, v14
	v_add_f16_e32 v10, v10, v24
	v_fma_f16 v73, v72, s5, v14
	v_fma_f16 v14, v72, s3, v14
	v_add_f16_e32 v72, v16, v13
	v_add_f16_e32 v10, v10, v25
	v_sub_f16_e32 v82, v24, v23
	v_sub_f16_e32 v100, v25, v26
	v_fma_f16 v72, v72, -0.5, v78
	v_sub_f16_e32 v23, v23, v26
	v_add_f16_e32 v10, v10, v26
	v_fma_f16 v73, v20, s2, v73
	v_add_f16_e32 v82, v82, v100
	v_fma_f16 v14, v20, s12, v14
	v_fma_f16 v26, v23, s5, v72
	v_sub_f16_e32 v24, v24, v25
	v_fma_f16 v73, v82, s4, v73
	v_fma_f16 v14, v82, s4, v14
	;; [unrolled: 1-line block ×3, first 2 shown]
	v_sub_f16_e32 v26, v11, v16
	v_sub_f16_e32 v82, v18, v13
	v_fma_f16 v72, v23, s3, v72
	v_add_f16_e32 v20, v78, v11
	v_add_f16_e32 v26, v26, v82
	v_fma_f16 v72, v24, s2, v72
	v_add_f16_e32 v20, v20, v16
	v_fma_f16 v25, v26, s4, v25
	v_fma_f16 v26, v26, s4, v72
	v_add_f16_e32 v72, v11, v18
	v_add_f16_e32 v20, v20, v13
	v_fma_f16 v72, v72, -0.5, v78
	v_add_f16_e32 v20, v20, v18
	v_fma_f16 v78, v24, s3, v72
	v_sub_f16_e32 v11, v16, v11
	v_sub_f16_e32 v13, v13, v18
	v_fma_f16 v16, v24, s5, v72
	v_add_f16_e32 v18, v64, v29
	v_fma_f16 v78, v23, s12, v78
	v_add_f16_e32 v11, v11, v13
	v_fma_f16 v16, v23, s2, v16
	v_fma_f16 v18, v18, -0.5, v15
	v_sub_f16_e32 v23, v28, v19
	v_fma_f16 v13, v11, s4, v78
	v_fma_f16 v24, v23, s3, v18
	v_sub_f16_e32 v72, v17, v30
	v_sub_f16_e32 v78, v27, v64
	;; [unrolled: 1-line block ×3, first 2 shown]
	v_fma_f16 v18, v23, s5, v18
	v_fma_f16 v24, v72, s2, v24
	v_add_f16_e32 v78, v78, v82
	v_fma_f16 v18, v72, s12, v18
	v_fma_f16 v24, v78, s4, v24
	;; [unrolled: 1-line block ×3, first 2 shown]
	v_add_f16_e32 v78, v27, v66
	v_lshrrev_b32_e32 v98, 16, v15
	v_fma_f16 v11, v11, s4, v16
	v_add_f16_e32 v16, v15, v27
	v_fma_f16 v15, v78, -0.5, v15
	v_add_f16_e32 v16, v16, v64
	v_fma_f16 v78, v72, s5, v15
	v_fma_f16 v15, v72, s3, v15
	v_add_f16_e32 v72, v17, v30
	v_add_f16_e32 v16, v16, v29
	v_sub_f16_e32 v82, v64, v27
	v_sub_f16_e32 v100, v29, v66
	v_fma_f16 v72, v72, -0.5, v98
	v_sub_f16_e32 v27, v27, v66
	v_add_f16_e32 v16, v16, v66
	v_fma_f16 v78, v23, s2, v78
	v_add_f16_e32 v82, v82, v100
	v_fma_f16 v15, v23, s12, v15
	v_fma_f16 v66, v27, s5, v72
	v_sub_f16_e32 v29, v64, v29
	v_fma_f16 v78, v82, s4, v78
	v_fma_f16 v15, v82, s4, v15
	;; [unrolled: 1-line block ×3, first 2 shown]
	v_sub_f16_e32 v66, v28, v17
	v_sub_f16_e32 v82, v19, v30
	v_fma_f16 v72, v27, s3, v72
	v_add_f16_e32 v66, v66, v82
	v_fma_f16 v72, v29, s2, v72
	v_add_f16_e32 v23, v98, v28
	v_fma_f16 v64, v66, s4, v64
	v_fma_f16 v66, v66, s4, v72
	v_add_f16_e32 v72, v28, v19
	v_add_f16_e32 v23, v23, v17
	v_fma_f16 v72, v72, -0.5, v98
	v_add_f16_e32 v23, v23, v30
	v_fma_f16 v82, v29, s3, v72
	v_sub_f16_e32 v17, v17, v28
	v_fma_f16 v28, v29, s5, v72
	v_add_f16_e32 v23, v23, v19
	v_fma_f16 v82, v27, s12, v82
	v_sub_f16_e32 v19, v30, v19
	v_fma_f16 v27, v27, s2, v28
	v_add_f16_e32 v28, v65, v33
	v_add_f16_e32 v17, v17, v19
	v_fma_f16 v28, v28, -0.5, v2
	v_sub_f16_e32 v29, v32, v35
	v_fma_f16 v19, v17, s4, v82
	v_fma_f16 v30, v29, s3, v28
	v_sub_f16_e32 v72, v6, v34
	v_sub_f16_e32 v82, v31, v65
	;; [unrolled: 1-line block ×3, first 2 shown]
	v_fma_f16 v28, v29, s5, v28
	v_fma_f16 v30, v72, s2, v30
	v_add_f16_e32 v82, v82, v98
	v_fma_f16 v28, v72, s12, v28
	v_fma_f16 v30, v82, s4, v30
	;; [unrolled: 1-line block ×3, first 2 shown]
	v_add_f16_e32 v82, v31, v67
	v_lshrrev_b32_e32 v105, 16, v2
	v_fma_f16 v17, v17, s4, v27
	v_add_f16_e32 v27, v2, v31
	v_fma_f16 v2, v82, -0.5, v2
	v_add_f16_e32 v27, v27, v65
	v_fma_f16 v82, v72, s5, v2
	v_fma_f16 v2, v72, s3, v2
	v_add_f16_e32 v72, v6, v34
	v_add_f16_e32 v27, v27, v33
	v_sub_f16_e32 v98, v65, v31
	v_sub_f16_e32 v100, v33, v67
	v_fma_f16 v72, v72, -0.5, v105
	v_sub_f16_e32 v31, v31, v67
	v_add_f16_e32 v27, v27, v67
	v_fma_f16 v82, v29, s2, v82
	v_add_f16_e32 v98, v98, v100
	v_fma_f16 v2, v29, s12, v2
	v_fma_f16 v67, v31, s5, v72
	v_sub_f16_e32 v33, v65, v33
	v_fma_f16 v82, v98, s4, v82
	v_fma_f16 v2, v98, s4, v2
	;; [unrolled: 1-line block ×3, first 2 shown]
	v_sub_f16_e32 v67, v32, v6
	v_sub_f16_e32 v98, v35, v34
	v_fma_f16 v72, v31, s3, v72
	v_add_f16_e32 v67, v67, v98
	v_fma_f16 v72, v33, s2, v72
	v_fma_f16 v65, v67, s4, v65
	;; [unrolled: 1-line block ×3, first 2 shown]
	v_add_f16_e32 v72, v32, v35
	v_pack_b32_f16 v4, v80, v4
	v_pack_b32_f16 v0, v0, v3
	v_add_f16_e32 v29, v105, v32
	v_fma_f16 v72, v72, -0.5, v105
	s_barrier
	ds_write2_b32 v83, v4, v0 offset0:130 offset1:195
	v_pack_b32_f16 v0, v75, v79
	v_pack_b32_f16 v3, v7, v68
	v_add_f16_e32 v29, v29, v6
	v_fma_f16 v98, v33, s3, v72
	v_sub_f16_e32 v6, v6, v32
	v_sub_f16_e32 v32, v34, v35
	v_fma_f16 v33, v33, s5, v72
	ds_write2_b32 v63, v0, v3 offset0:4 offset1:69
	v_pack_b32_f16 v0, v69, v21
	v_pack_b32_f16 v3, v81, v9
	v_fma_f16 v98, v31, s12, v98
	v_add_f16_e32 v6, v6, v32
	v_fma_f16 v31, v31, s2, v33
	ds_write2_b32 v63, v0, v3 offset0:134 offset1:199
	v_pack_b32_f16 v0, v1, v5
	v_pack_b32_f16 v1, v8, v71
	v_fma_f16 v32, v6, s4, v98
	v_fma_f16 v6, v6, s4, v31
	v_pack_b32_f16 v31, v74, v76
	v_pack_b32_f16 v33, v77, v70
	ds_write2_b32 v59, v0, v1 offset0:8 offset1:73
	v_pack_b32_f16 v0, v10, v20
	v_pack_b32_f16 v1, v22, v25
	v_add_u32_e32 v3, 0x800, v109
	ds_write2_b32 v83, v31, v33 offset1:65
	ds_write2_b32 v3, v0, v1 offset0:138 offset1:203
	v_pack_b32_f16 v0, v73, v13
	v_pack_b32_f16 v1, v14, v11
	v_add_u32_e32 v3, 0xc00, v109
	ds_write2_b32 v3, v0, v1 offset0:12 offset1:77
	v_pack_b32_f16 v0, v12, v26
	ds_write_b32 v109, v0 offset:3640
	v_pack_b32_f16 v0, v16, v23
	v_pack_b32_f16 v1, v24, v64
	v_add_u32_e32 v3, 0xe00, v110
	v_add_f16_e32 v29, v29, v34
	ds_write2_b32 v3, v0, v1 offset0:79 offset1:144
	v_pack_b32_f16 v0, v78, v19
	v_pack_b32_f16 v1, v15, v17
	v_add_u32_e32 v3, 0x1000, v110
	v_add_f16_e32 v29, v29, v35
	ds_write2_b32 v3, v0, v1 offset0:81 offset1:146
	v_pack_b32_f16 v0, v18, v66
	ds_write_b32 v110, v0 offset:4940
	v_pack_b32_f16 v0, v27, v29
	v_pack_b32_f16 v1, v30, v65
	v_add_u32_e32 v3, 0x1400, v111
	ds_write2_b32 v3, v0, v1 offset0:20 offset1:85
	v_pack_b32_f16 v0, v82, v32
	v_pack_b32_f16 v1, v2, v6
	ds_write2_b32 v3, v0, v1 offset0:150 offset1:215
	v_pack_b32_f16 v0, v28, v67
	ds_write_b32 v111, v0 offset:6240
	s_waitcnt lgkmcnt(0)
	s_barrier
	ds_read2_b32 v[0:1], v83 offset1:65
	ds_read2_b32 v[2:3], v63 offset0:4 offset1:69
	ds_read2_b32 v[4:5], v59 offset0:138 offset1:203
	;; [unrolled: 1-line block ×6, first 2 shown]
	s_waitcnt lgkmcnt(5)
	v_lshrrev_b32_e32 v25, 16, v3
	v_mul_f16_sdwa v73, v36, v25 dst_sel:DWORD dst_unused:UNUSED_PAD src0_sel:WORD_1 src1_sel:DWORD
	s_waitcnt lgkmcnt(4)
	v_lshrrev_b32_e32 v26, 16, v4
	v_fma_f16 v73, v36, v3, v73
	v_mul_f16_sdwa v3, v36, v3 dst_sel:DWORD dst_unused:UNUSED_PAD src0_sel:WORD_1 src1_sel:DWORD
	v_fma_f16 v3, v36, v25, -v3
	v_mul_f16_sdwa v25, v37, v26 dst_sel:DWORD dst_unused:UNUSED_PAD src0_sel:WORD_1 src1_sel:DWORD
	s_waitcnt lgkmcnt(3)
	v_lshrrev_b32_e32 v27, 16, v7
	v_fma_f16 v25, v37, v4, v25
	v_mul_f16_sdwa v4, v37, v4 dst_sel:DWORD dst_unused:UNUSED_PAD src0_sel:WORD_1 src1_sel:DWORD
	v_fma_f16 v4, v37, v26, -v4
	;; [unrolled: 6-line block ×3, first 2 shown]
	v_mul_f16_sdwa v27, v39, v28 dst_sel:DWORD dst_unused:UNUSED_PAD src0_sel:WORD_1 src1_sel:DWORD
	s_waitcnt lgkmcnt(1)
	v_lshrrev_b32_e32 v30, 16, v10
	v_fma_f16 v27, v39, v8, v27
	v_mul_f16_sdwa v8, v39, v8 dst_sel:DWORD dst_unused:UNUSED_PAD src0_sel:WORD_1 src1_sel:DWORD
	ds_read2_b32 v[20:21], v59 offset0:8 offset1:73
	v_fma_f16 v8, v39, v28, -v8
	v_mul_f16_sdwa v28, v40, v30 dst_sel:DWORD dst_unused:UNUSED_PAD src0_sel:WORD_1 src1_sel:DWORD
	v_lshrrev_b32_e32 v31, 16, v5
	ds_read2_b32 v[16:17], v61 offset0:12 offset1:77
	v_fma_f16 v28, v40, v10, v28
	v_mul_f16_sdwa v10, v40, v10 dst_sel:DWORD dst_unused:UNUSED_PAD src0_sel:WORD_1 src1_sel:DWORD
	ds_read2_b32 v[18:19], v60 offset0:150 offset1:215
	ds_read2_b32 v[22:23], v62 offset0:146 offset1:211
	v_fma_f16 v10, v40, v30, -v10
	v_mul_f16_sdwa v30, v41, v31 dst_sel:DWORD dst_unused:UNUSED_PAD src0_sel:WORD_1 src1_sel:DWORD
	s_waitcnt lgkmcnt(4)
	v_lshrrev_b32_e32 v32, 16, v12
	v_fma_f16 v30, v41, v5, v30
	v_mul_f16_sdwa v5, v41, v5 dst_sel:DWORD dst_unused:UNUSED_PAD src0_sel:WORD_1 src1_sel:DWORD
	v_fma_f16 v5, v41, v31, -v5
	v_mul_f16_sdwa v31, v42, v32 dst_sel:DWORD dst_unused:UNUSED_PAD src0_sel:WORD_1 src1_sel:DWORD
	v_lshrrev_b32_e32 v33, 16, v9
	s_waitcnt lgkmcnt(3)
	v_lshrrev_b32_e32 v63, 16, v20
	v_fma_f16 v31, v42, v12, v31
	v_mul_f16_sdwa v12, v42, v12 dst_sel:DWORD dst_unused:UNUSED_PAD src0_sel:WORD_1 src1_sel:DWORD
	s_waitcnt lgkmcnt(2)
	v_lshrrev_b32_e32 v64, 16, v17
	v_fma_f16 v12, v42, v32, -v12
	v_mul_f16_sdwa v32, v43, v33 dst_sel:DWORD dst_unused:UNUSED_PAD src0_sel:WORD_1 src1_sel:DWORD
	v_mul_f16_sdwa v38, v48, v63 dst_sel:DWORD dst_unused:UNUSED_PAD src0_sel:WORD_1 src1_sel:DWORD
	s_waitcnt lgkmcnt(0)
	v_lshrrev_b32_e32 v65, 16, v22
	v_lshrrev_b32_e32 v66, 16, v19
	;; [unrolled: 1-line block ×4, first 2 shown]
	v_fma_f16 v32, v43, v9, v32
	v_mul_f16_sdwa v9, v43, v9 dst_sel:DWORD dst_unused:UNUSED_PAD src0_sel:WORD_1 src1_sel:DWORD
	v_fma_f16 v38, v48, v20, v38
	v_mul_f16_sdwa v20, v48, v20 dst_sel:DWORD dst_unused:UNUSED_PAD src0_sel:WORD_1 src1_sel:DWORD
	v_mul_f16_sdwa v39, v49, v64 dst_sel:DWORD dst_unused:UNUSED_PAD src0_sel:WORD_1 src1_sel:DWORD
	v_fma_f16 v9, v43, v33, -v9
	v_fma_f16 v20, v48, v63, -v20
	v_fma_f16 v39, v49, v17, v39
	v_mul_f16_sdwa v17, v49, v17 dst_sel:DWORD dst_unused:UNUSED_PAD src0_sel:WORD_1 src1_sel:DWORD
	v_mul_f16_sdwa v40, v50, v65 dst_sel:DWORD dst_unused:UNUSED_PAD src0_sel:WORD_1 src1_sel:DWORD
	;; [unrolled: 1-line block ×5, first 2 shown]
	v_add_f16_e32 v48, v25, v26
	v_lshrrev_b32_e32 v35, 16, v11
	v_lshrrev_b32_e32 v61, 16, v18
	v_fma_f16 v17, v49, v64, -v17
	v_fma_f16 v40, v50, v22, v40
	v_mul_f16_sdwa v22, v50, v22 dst_sel:DWORD dst_unused:UNUSED_PAD src0_sel:WORD_1 src1_sel:DWORD
	v_fma_f16 v41, v51, v19, v41
	v_mul_f16_sdwa v19, v51, v19 dst_sel:DWORD dst_unused:UNUSED_PAD src0_sel:WORD_1 src1_sel:DWORD
	;; [unrolled: 2-line block ×4, first 2 shown]
	v_fma_f16 v48, v48, -0.5, v0
	v_sub_f16_e32 v49, v3, v8
	v_mul_f16_sdwa v33, v44, v35 dst_sel:DWORD dst_unused:UNUSED_PAD src0_sel:WORD_1 src1_sel:DWORD
	v_mul_f16_sdwa v37, v47, v61 dst_sel:DWORD dst_unused:UNUSED_PAD src0_sel:WORD_1 src1_sel:DWORD
	v_fma_f16 v22, v50, v65, -v22
	v_fma_f16 v19, v51, v66, -v19
	;; [unrolled: 1-line block ×4, first 2 shown]
	v_fma_f16 v50, v49, s3, v48
	v_sub_f16_e32 v51, v4, v7
	v_sub_f16_e32 v52, v73, v25
	;; [unrolled: 1-line block ×3, first 2 shown]
	v_fma_f16 v48, v49, s5, v48
	v_lshrrev_b32_e32 v71, 16, v23
	v_fma_f16 v33, v44, v11, v33
	v_mul_f16_sdwa v11, v44, v11 dst_sel:DWORD dst_unused:UNUSED_PAD src0_sel:WORD_1 src1_sel:DWORD
	v_fma_f16 v37, v47, v18, v37
	v_mul_f16_sdwa v18, v47, v18 dst_sel:DWORD dst_unused:UNUSED_PAD src0_sel:WORD_1 src1_sel:DWORD
	v_fma_f16 v50, v51, s2, v50
	v_add_f16_e32 v52, v52, v53
	v_fma_f16 v48, v51, s12, v48
	v_fma_f16 v11, v44, v35, -v11
	v_fma_f16 v18, v47, v61, -v18
	v_mul_f16_sdwa v44, v54, v71 dst_sel:DWORD dst_unused:UNUSED_PAD src0_sel:WORD_1 src1_sel:DWORD
	v_add_f16_e32 v47, v0, v73
	v_fma_f16 v50, v52, s4, v50
	v_fma_f16 v48, v52, s4, v48
	v_add_f16_e32 v52, v73, v27
	v_lshrrev_b32_e32 v24, 16, v0
	v_fma_f16 v44, v54, v23, v44
	v_mul_f16_sdwa v23, v54, v23 dst_sel:DWORD dst_unused:UNUSED_PAD src0_sel:WORD_1 src1_sel:DWORD
	v_add_f16_e32 v47, v47, v25
	v_fma_f16 v0, v52, -0.5, v0
	v_fma_f16 v23, v54, v71, -v23
	v_add_f16_e32 v47, v47, v26
	v_fma_f16 v52, v51, s5, v0
	v_sub_f16_e32 v53, v25, v73
	v_sub_f16_e32 v54, v26, v27
	v_fma_f16 v0, v51, s3, v0
	v_add_f16_e32 v51, v4, v7
	v_add_f16_e32 v47, v47, v27
	v_fma_f16 v52, v49, s2, v52
	v_add_f16_e32 v53, v53, v54
	v_fma_f16 v0, v49, s12, v0
	v_fma_f16 v51, v51, -0.5, v24
	v_sub_f16_e32 v27, v73, v27
	v_fma_f16 v52, v53, s4, v52
	v_fma_f16 v0, v53, s4, v0
	;; [unrolled: 1-line block ×3, first 2 shown]
	v_sub_f16_e32 v25, v25, v26
	v_fma_f16 v26, v25, s12, v53
	v_sub_f16_e32 v53, v3, v4
	v_sub_f16_e32 v54, v8, v7
	v_fma_f16 v51, v27, s3, v51
	v_add_f16_e32 v49, v24, v3
	v_add_f16_e32 v53, v53, v54
	v_fma_f16 v51, v25, s2, v51
	v_add_f16_e32 v49, v49, v4
	v_fma_f16 v26, v53, s4, v26
	v_fma_f16 v51, v53, s4, v51
	v_add_f16_e32 v53, v3, v8
	v_add_f16_e32 v49, v49, v7
	v_fma_f16 v24, v53, -0.5, v24
	ds_read_b32 v67, v83 offset:6240
	v_add_f16_e32 v49, v49, v8
	v_fma_f16 v53, v25, s3, v24
	v_sub_f16_e32 v3, v4, v3
	v_sub_f16_e32 v4, v7, v8
	v_add_f16_e32 v8, v30, v31
	v_fma_f16 v53, v27, s12, v53
	v_add_f16_e32 v3, v3, v4
	v_fma_f16 v7, v25, s5, v24
	v_fma_f16 v8, v8, -0.5, v1
	v_sub_f16_e32 v24, v10, v9
	v_fma_f16 v4, v3, s4, v53
	v_fma_f16 v7, v27, s2, v7
	;; [unrolled: 1-line block ×3, first 2 shown]
	v_sub_f16_e32 v27, v5, v12
	v_sub_f16_e32 v53, v28, v30
	v_sub_f16_e32 v54, v32, v31
	v_fma_f16 v8, v24, s5, v8
	v_lshrrev_b32_e32 v60, 16, v16
	v_lshrrev_b32_e32 v59, 16, v13
	v_fma_f16 v25, v27, s2, v25
	v_add_f16_e32 v53, v53, v54
	v_fma_f16 v8, v27, s12, v8
	v_mul_f16_sdwa v35, v45, v60 dst_sel:DWORD dst_unused:UNUSED_PAD src0_sel:WORD_1 src1_sel:DWORD
	v_mul_f16_sdwa v36, v46, v59 dst_sel:DWORD dst_unused:UNUSED_PAD src0_sel:WORD_1 src1_sel:DWORD
	v_fma_f16 v25, v53, s4, v25
	v_fma_f16 v8, v53, s4, v8
	v_add_f16_e32 v53, v28, v32
	v_lshrrev_b32_e32 v29, 16, v1
	s_waitcnt lgkmcnt(0)
	v_lshrrev_b32_e32 v72, 16, v67
	v_fma_f16 v35, v45, v16, v35
	v_mul_f16_sdwa v16, v45, v16 dst_sel:DWORD dst_unused:UNUSED_PAD src0_sel:WORD_1 src1_sel:DWORD
	v_fma_f16 v36, v46, v13, v36
	v_mul_f16_sdwa v13, v46, v13 dst_sel:DWORD dst_unused:UNUSED_PAD src0_sel:WORD_1 src1_sel:DWORD
	v_fma_f16 v3, v3, s4, v7
	v_add_f16_e32 v7, v1, v28
	v_fma_f16 v1, v53, -0.5, v1
	v_fma_f16 v16, v45, v60, -v16
	v_fma_f16 v13, v46, v59, -v13
	v_mul_f16_sdwa v45, v55, v72 dst_sel:DWORD dst_unused:UNUSED_PAD src0_sel:WORD_1 src1_sel:DWORD
	v_mul_f16_sdwa v46, v55, v67 dst_sel:DWORD dst_unused:UNUSED_PAD src0_sel:WORD_1 src1_sel:DWORD
	v_add_f16_e32 v7, v7, v30
	v_fma_f16 v53, v27, s5, v1
	v_fma_f16 v1, v27, s3, v1
	v_add_f16_e32 v27, v5, v12
	v_fma_f16 v45, v55, v67, v45
	v_fma_f16 v46, v55, v72, -v46
	v_add_f16_e32 v7, v7, v31
	v_sub_f16_e32 v54, v30, v28
	v_sub_f16_e32 v55, v31, v32
	v_fma_f16 v27, v27, -0.5, v29
	v_sub_f16_e32 v28, v28, v32
	v_add_f16_e32 v7, v7, v32
	v_fma_f16 v53, v24, s2, v53
	v_add_f16_e32 v54, v54, v55
	v_fma_f16 v1, v24, s12, v1
	v_fma_f16 v32, v28, s5, v27
	v_sub_f16_e32 v30, v30, v31
	ds_read2_b32 v[14:15], v83 offset0:130 offset1:195
	v_fma_f16 v53, v54, s4, v53
	v_fma_f16 v1, v54, s4, v1
	;; [unrolled: 1-line block ×3, first 2 shown]
	v_sub_f16_e32 v32, v10, v5
	v_sub_f16_e32 v54, v9, v12
	v_fma_f16 v27, v28, s3, v27
	v_add_f16_e32 v24, v29, v10
	v_add_f16_e32 v32, v32, v54
	v_fma_f16 v27, v30, s2, v27
	v_add_f16_e32 v24, v24, v5
	v_fma_f16 v31, v32, s4, v31
	v_fma_f16 v27, v32, s4, v27
	v_add_f16_e32 v32, v10, v9
	v_add_f16_e32 v24, v24, v12
	v_fma_f16 v29, v32, -0.5, v29
	v_add_f16_e32 v24, v24, v9
	v_fma_f16 v32, v30, s3, v29
	v_sub_f16_e32 v5, v5, v10
	v_sub_f16_e32 v9, v12, v9
	v_fma_f16 v10, v30, s5, v29
	v_add_f16_e32 v12, v35, v36
	v_fma_f16 v32, v28, s12, v32
	v_add_f16_e32 v5, v5, v9
	v_fma_f16 v10, v28, s2, v10
	s_waitcnt lgkmcnt(0)
	v_fma_f16 v12, v12, -0.5, v14
	v_sub_f16_e32 v28, v11, v18
	v_fma_f16 v9, v5, s4, v32
	v_fma_f16 v29, v28, s3, v12
	v_sub_f16_e32 v30, v16, v13
	v_sub_f16_e32 v32, v33, v35
	;; [unrolled: 1-line block ×3, first 2 shown]
	v_fma_f16 v12, v28, s5, v12
	v_fma_f16 v29, v30, s2, v29
	v_add_f16_e32 v32, v32, v54
	v_fma_f16 v12, v30, s12, v12
	v_fma_f16 v29, v32, s4, v29
	;; [unrolled: 1-line block ×3, first 2 shown]
	v_add_f16_e32 v32, v33, v37
	v_lshrrev_b32_e32 v34, 16, v14
	v_fma_f16 v5, v5, s4, v10
	v_add_f16_e32 v10, v14, v33
	v_fma_f16 v14, v32, -0.5, v14
	v_add_f16_e32 v10, v10, v35
	v_fma_f16 v32, v30, s5, v14
	v_fma_f16 v14, v30, s3, v14
	v_add_f16_e32 v30, v16, v13
	v_add_f16_e32 v10, v10, v36
	v_sub_f16_e32 v54, v35, v33
	v_sub_f16_e32 v55, v36, v37
	v_fma_f16 v30, v30, -0.5, v34
	v_sub_f16_e32 v33, v33, v37
	v_add_f16_e32 v10, v10, v37
	v_fma_f16 v32, v28, s2, v32
	v_add_f16_e32 v54, v54, v55
	v_fma_f16 v14, v28, s12, v14
	v_fma_f16 v37, v33, s5, v30
	v_sub_f16_e32 v35, v35, v36
	v_fma_f16 v32, v54, s4, v32
	v_fma_f16 v14, v54, s4, v14
	;; [unrolled: 1-line block ×3, first 2 shown]
	v_sub_f16_e32 v37, v11, v16
	v_sub_f16_e32 v54, v18, v13
	v_fma_f16 v30, v33, s3, v30
	v_add_f16_e32 v28, v34, v11
	v_add_f16_e32 v37, v37, v54
	v_fma_f16 v30, v35, s2, v30
	v_add_f16_e32 v28, v28, v16
	v_fma_f16 v36, v37, s4, v36
	v_fma_f16 v30, v37, s4, v30
	v_add_f16_e32 v37, v11, v18
	v_add_f16_e32 v28, v28, v13
	v_fma_f16 v34, v37, -0.5, v34
	v_add_f16_e32 v28, v28, v18
	v_fma_f16 v37, v35, s3, v34
	v_sub_f16_e32 v11, v16, v11
	v_sub_f16_e32 v13, v13, v18
	v_fma_f16 v16, v35, s5, v34
	v_add_f16_e32 v18, v39, v40
	v_fma_f16 v37, v33, s12, v37
	v_add_f16_e32 v11, v11, v13
	v_fma_f16 v16, v33, s2, v16
	v_fma_f16 v18, v18, -0.5, v15
	v_sub_f16_e32 v33, v20, v19
	v_fma_f16 v13, v11, s4, v37
	v_fma_f16 v34, v33, s3, v18
	v_sub_f16_e32 v35, v17, v22
	v_sub_f16_e32 v37, v38, v39
	;; [unrolled: 1-line block ×3, first 2 shown]
	v_fma_f16 v18, v33, s5, v18
	v_fma_f16 v34, v35, s2, v34
	v_add_f16_e32 v37, v37, v54
	v_fma_f16 v18, v35, s12, v18
	v_fma_f16 v34, v37, s4, v34
	;; [unrolled: 1-line block ×3, first 2 shown]
	v_add_f16_e32 v37, v38, v41
	v_lshrrev_b32_e32 v62, 16, v15
	v_fma_f16 v11, v11, s4, v16
	v_add_f16_e32 v16, v15, v38
	v_fma_f16 v15, v37, -0.5, v15
	v_add_f16_e32 v16, v16, v39
	v_fma_f16 v37, v35, s5, v15
	v_fma_f16 v15, v35, s3, v15
	v_add_f16_e32 v35, v17, v22
	v_add_f16_e32 v16, v16, v40
	v_sub_f16_e32 v54, v39, v38
	v_sub_f16_e32 v55, v40, v41
	v_fma_f16 v35, v35, -0.5, v62
	v_sub_f16_e32 v38, v38, v41
	v_add_f16_e32 v16, v16, v41
	v_fma_f16 v37, v33, s2, v37
	v_add_f16_e32 v54, v54, v55
	v_fma_f16 v15, v33, s12, v15
	v_fma_f16 v41, v38, s5, v35
	v_sub_f16_e32 v39, v39, v40
	v_fma_f16 v37, v54, s4, v37
	v_fma_f16 v15, v54, s4, v15
	;; [unrolled: 1-line block ×3, first 2 shown]
	v_sub_f16_e32 v41, v20, v17
	v_sub_f16_e32 v54, v19, v22
	v_fma_f16 v35, v38, s3, v35
	v_add_f16_e32 v33, v62, v20
	v_add_f16_e32 v41, v41, v54
	v_fma_f16 v35, v39, s2, v35
	v_add_f16_e32 v33, v33, v17
	v_fma_f16 v40, v41, s4, v40
	v_fma_f16 v35, v41, s4, v35
	v_add_f16_e32 v41, v20, v19
	v_add_f16_e32 v33, v33, v22
	v_fma_f16 v41, v41, -0.5, v62
	v_add_f16_e32 v33, v33, v19
	v_fma_f16 v54, v39, s3, v41
	v_sub_f16_e32 v17, v17, v20
	v_sub_f16_e32 v19, v22, v19
	v_fma_f16 v20, v39, s5, v41
	v_add_f16_e32 v22, v43, v44
	v_fma_f16 v54, v38, s12, v54
	v_add_f16_e32 v17, v17, v19
	v_fma_f16 v20, v38, s2, v20
	v_fma_f16 v22, v22, -0.5, v2
	v_sub_f16_e32 v38, v21, v46
	v_fma_f16 v19, v17, s4, v54
	v_fma_f16 v39, v38, s3, v22
	v_sub_f16_e32 v41, v6, v23
	v_sub_f16_e32 v54, v42, v43
	;; [unrolled: 1-line block ×3, first 2 shown]
	v_fma_f16 v22, v38, s5, v22
	v_fma_f16 v39, v41, s2, v39
	v_add_f16_e32 v54, v54, v55
	v_fma_f16 v22, v41, s12, v22
	v_fma_f16 v39, v54, s4, v39
	;; [unrolled: 1-line block ×3, first 2 shown]
	v_add_f16_e32 v54, v42, v45
	v_lshrrev_b32_e32 v68, 16, v2
	v_fma_f16 v17, v17, s4, v20
	v_add_f16_e32 v20, v2, v42
	v_fma_f16 v2, v54, -0.5, v2
	v_add_f16_e32 v20, v20, v43
	v_fma_f16 v54, v41, s5, v2
	v_fma_f16 v2, v41, s3, v2
	v_add_f16_e32 v41, v6, v23
	v_add_f16_e32 v20, v20, v44
	v_sub_f16_e32 v55, v43, v42
	v_sub_f16_e32 v59, v44, v45
	v_fma_f16 v41, v41, -0.5, v68
	v_sub_f16_e32 v42, v42, v45
	v_add_f16_e32 v20, v20, v45
	v_fma_f16 v54, v38, s2, v54
	v_add_f16_e32 v55, v55, v59
	v_fma_f16 v2, v38, s12, v2
	v_fma_f16 v45, v42, s5, v41
	v_sub_f16_e32 v43, v43, v44
	v_fma_f16 v54, v55, s4, v54
	v_fma_f16 v2, v55, s4, v2
	;; [unrolled: 1-line block ×3, first 2 shown]
	v_sub_f16_e32 v45, v21, v6
	v_sub_f16_e32 v55, v46, v23
	v_fma_f16 v41, v42, s3, v41
	v_add_f16_e32 v45, v45, v55
	v_fma_f16 v41, v43, s2, v41
	v_add_f16_e32 v38, v68, v21
	v_fma_f16 v44, v45, s4, v44
	v_fma_f16 v41, v45, s4, v41
	v_add_f16_e32 v45, v21, v46
	v_add_f16_e32 v38, v38, v6
	v_fma_f16 v45, v45, -0.5, v68
	v_add_f16_e32 v38, v38, v23
	v_fma_f16 v55, v43, s3, v45
	v_sub_f16_e32 v6, v6, v21
	v_sub_f16_e32 v21, v23, v46
	v_fma_f16 v23, v43, s5, v45
	v_fma_f16 v55, v42, s12, v55
	v_add_f16_e32 v6, v6, v21
	v_fma_f16 v23, v42, s2, v23
	v_fma_f16 v21, v6, s4, v55
	;; [unrolled: 1-line block ×3, first 2 shown]
	v_pack_b32_f16 v23, v47, v49
	ds_write_b32 v83, v23
	v_pack_b32_f16 v23, v50, v26
	v_pack_b32_f16 v7, v7, v24
	;; [unrolled: 1-line block ×3, first 2 shown]
	v_add_u32_e32 v25, 0x400, v99
	v_pack_b32_f16 v4, v52, v4
	ds_write2_b32 v25, v23, v24 offset0:69 offset1:134
	v_pack_b32_f16 v9, v53, v9
	v_add_u32_e32 v23, 0x800, v99
	v_pack_b32_f16 v0, v0, v3
	ds_write2_b32 v23, v4, v9 offset0:138 offset1:203
	v_pack_b32_f16 v1, v1, v5
	;; [unrolled: 4-line block ×3, first 2 shown]
	v_add_u32_e32 v1, 0x1400, v99
	ds_write2_b32 v1, v3, v0 offset0:20 offset1:85
	v_pack_b32_f16 v0, v10, v28
	ds_write2_b32 v99, v7, v0 offset0:65 offset1:130
	v_pack_b32_f16 v0, v29, v36
	ds_write_b32 v114, v0 offset:1300
	v_pack_b32_f16 v0, v32, v13
	ds_write_b32 v114, v0 offset:2600
	;; [unrolled: 2-line block ×7, first 2 shown]
	v_pack_b32_f16 v0, v15, v17
	v_add_f16_e32 v38, v38, v46
	ds_write_b32 v113, v0 offset:3900
	v_pack_b32_f16 v0, v18, v35
	ds_write_b32 v113, v0 offset:5200
	v_pack_b32_f16 v0, v20, v38
	;; [unrolled: 2-line block ×6, first 2 shown]
	ds_write_b32 v112, v0 offset:5200
	s_waitcnt lgkmcnt(0)
	s_barrier
	ds_read2_b32 v[0:1], v83 offset1:125
	s_mov_b32 s12, 0x6615bd85
	s_mov_b32 s13, 0x3f442a38
	v_mad_u64_u32 v[3:4], s[2:3], s10, v58, 0
	s_waitcnt lgkmcnt(0)
	v_lshrrev_b32_e32 v9, 16, v0
	v_mul_f16_sdwa v2, v96, v9 dst_sel:DWORD dst_unused:UNUSED_PAD src0_sel:WORD_1 src1_sel:DWORD
	v_fma_f16 v2, v96, v0, v2
	v_cvt_f32_f16_e32 v2, v2
	s_movk_i32 s15, 0x1ff
	s_movk_i32 s10, 0xffe
	v_mul_f16_sdwa v0, v96, v0 dst_sel:DWORD dst_unused:UNUSED_PAD src0_sel:WORD_1 src1_sel:DWORD
	v_cvt_f64_f32_e32 v[5:6], v2
	v_mov_b32_e32 v2, v4
	v_mad_u64_u32 v[7:8], s[2:3], s11, v58, v[2:3]
	v_mul_f64 v[5:6], v[5:6], s[12:13]
	v_fma_f16 v0, v96, v9, -v0
	v_mov_b32_e32 v4, v7
	v_cvt_f32_f16_e32 v0, v0
	s_movk_i32 s11, 0x40f
	s_mov_b32 s14, 0x8000
	v_lshlrev_b64 v[3:4], 2, v[3:4]
	s_movk_i32 s16, 0x1000
	v_and_or_b32 v2, v6, s15, v5
	v_cmp_ne_u32_e32 vcc, 0, v2
	v_cndmask_b32_e64 v2, 0, 1, vcc
	v_lshrrev_b32_e32 v5, 8, v6
	v_bfe_u32 v7, v6, 20, 11
	v_and_or_b32 v5, v5, s10, v2
	v_sub_u32_e32 v8, 0x3f1, v7
	v_or_b32_e32 v2, 0x1000, v5
	v_med3_i32 v8, v8, 0, 13
	v_lshrrev_b32_e32 v10, v8, v2
	v_lshlrev_b32_e32 v8, v8, v10
	v_cmp_ne_u32_e32 vcc, v8, v2
	v_cndmask_b32_e64 v2, 0, 1, vcc
	v_or_b32_e32 v2, v10, v2
	v_add_u32_e32 v10, 0xfffffc10, v7
	v_lshl_or_b32 v7, v10, 12, v5
	v_cmp_gt_i32_e32 vcc, 1, v10
	v_cndmask_b32_e32 v2, v7, v2, vcc
	v_and_b32_e32 v7, 7, v2
	v_cmp_lt_i32_e32 vcc, 5, v7
	v_cmp_eq_u32_e64 s[2:3], 3, v7
	v_cvt_f64_f32_e32 v[7:8], v0
	v_lshrrev_b32_e32 v2, 2, v2
	s_or_b64 vcc, s[2:3], vcc
	v_addc_co_u32_e32 v9, vcc, 0, v2, vcc
	v_mul_f64 v[7:8], v[7:8], s[12:13]
	v_mov_b32_e32 v2, 0x7c00
	v_cmp_gt_i32_e32 vcc, 31, v10
	v_cndmask_b32_e32 v0, v2, v9, vcc
	v_cmp_ne_u32_e32 vcc, 0, v5
	v_cndmask_b32_e64 v5, 0, 1, vcc
	v_lshl_or_b32 v5, v5, 9, v2
	v_cmp_eq_u32_e32 vcc, s11, v10
	v_cndmask_b32_e32 v0, v0, v5, vcc
	v_lshrrev_b32_e32 v5, 16, v6
	v_and_or_b32 v9, v5, s14, v0
	v_and_or_b32 v0, v8, s15, v7
	v_cmp_ne_u32_e32 vcc, 0, v0
	v_cndmask_b32_e64 v0, 0, 1, vcc
	v_lshrrev_b32_e32 v5, 8, v8
	v_bfe_u32 v6, v8, 20, 11
	v_and_or_b32 v0, v5, s10, v0
	v_sub_u32_e32 v7, 0x3f1, v6
	v_or_b32_e32 v5, 0x1000, v0
	v_med3_i32 v7, v7, 0, 13
	v_lshrrev_b32_e32 v10, v7, v5
	v_lshlrev_b32_e32 v7, v7, v10
	v_cmp_ne_u32_e32 vcc, v7, v5
	v_cndmask_b32_e64 v5, 0, 1, vcc
	v_add_u32_e32 v7, 0xfffffc10, v6
	v_or_b32_e32 v5, v10, v5
	v_lshl_or_b32 v6, v7, 12, v0
	v_cmp_gt_i32_e32 vcc, 1, v7
	v_cndmask_b32_e32 v5, v6, v5, vcc
	v_and_b32_e32 v6, 7, v5
	v_cmp_lt_i32_e32 vcc, 5, v6
	v_cmp_eq_u32_e64 s[2:3], 3, v6
	v_lshrrev_b32_e32 v5, 2, v5
	s_or_b64 vcc, s[2:3], vcc
	v_addc_co_u32_e32 v5, vcc, 0, v5, vcc
	v_cmp_gt_i32_e32 vcc, 31, v7
	v_cndmask_b32_e32 v10, v2, v5, vcc
	v_mad_u64_u32 v[5:6], s[2:3], s8, v95, 0
	v_cmp_ne_u32_e32 vcc, 0, v0
	v_cndmask_b32_e64 v0, 0, 1, vcc
	v_lshl_or_b32 v0, v0, 9, v2
	v_cmp_eq_u32_e32 vcc, s11, v7
	v_cndmask_b32_e32 v10, v10, v0, vcc
	v_mov_b32_e32 v0, v6
	v_mad_u64_u32 v[6:7], s[2:3], s9, v95, v[0:1]
	v_lshrrev_b32_e32 v0, 16, v1
	v_mul_f16_sdwa v7, v97, v0 dst_sel:DWORD dst_unused:UNUSED_PAD src0_sel:WORD_1 src1_sel:DWORD
	v_fma_f16 v7, v97, v1, v7
	v_cvt_f32_f16_e32 v7, v7
	v_lshrrev_b32_e32 v8, 16, v8
	v_and_or_b32 v10, v8, s14, v10
	v_and_b32_e32 v9, 0xffff, v9
	v_cvt_f64_f32_e32 v[7:8], v7
	v_lshl_or_b32 v9, v10, 16, v9
	v_mov_b32_e32 v10, s7
	v_add_co_u32_e32 v11, vcc, s6, v3
	v_mul_f64 v[7:8], v[7:8], s[12:13]
	v_addc_co_u32_e32 v10, vcc, v10, v4, vcc
	v_lshlrev_b64 v[3:4], 2, v[5:6]
	v_mul_f16_sdwa v1, v97, v1 dst_sel:DWORD dst_unused:UNUSED_PAD src0_sel:WORD_1 src1_sel:DWORD
	v_add_co_u32_e32 v5, vcc, v11, v3
	v_addc_co_u32_e32 v6, vcc, v10, v4, vcc
	v_and_or_b32 v3, v8, s15, v7
	v_cmp_ne_u32_e32 vcc, 0, v3
	v_fma_f16 v0, v97, v0, -v1
	v_cndmask_b32_e64 v3, 0, 1, vcc
	v_lshrrev_b32_e32 v4, 8, v8
	v_bfe_u32 v7, v8, 20, 11
	v_cvt_f32_f16_e32 v0, v0
	global_store_dword v[5:6], v9, off
	v_and_or_b32 v3, v4, s10, v3
	v_sub_u32_e32 v9, 0x3f1, v7
	v_or_b32_e32 v4, 0x1000, v3
	v_med3_i32 v9, v9, 0, 13
	v_lshrrev_b32_e32 v10, v9, v4
	v_lshlrev_b32_e32 v9, v9, v10
	v_cvt_f64_f32_e32 v[0:1], v0
	v_cmp_ne_u32_e32 vcc, v9, v4
	v_cndmask_b32_e64 v4, 0, 1, vcc
	v_add_u32_e32 v7, 0xfffffc10, v7
	v_or_b32_e32 v4, v10, v4
	v_lshl_or_b32 v9, v7, 12, v3
	v_cmp_gt_i32_e32 vcc, 1, v7
	v_cndmask_b32_e32 v4, v9, v4, vcc
	v_mul_f64 v[0:1], v[0:1], s[12:13]
	v_and_b32_e32 v9, 7, v4
	v_cmp_lt_i32_e32 vcc, 5, v9
	v_cmp_eq_u32_e64 s[2:3], 3, v9
	v_lshrrev_b32_e32 v4, 2, v4
	s_or_b64 vcc, s[2:3], vcc
	v_addc_co_u32_e32 v4, vcc, 0, v4, vcc
	v_cmp_gt_i32_e32 vcc, 31, v7
	v_cndmask_b32_e32 v4, v2, v4, vcc
	v_cmp_ne_u32_e32 vcc, 0, v3
	v_cndmask_b32_e64 v3, 0, 1, vcc
	v_lshl_or_b32 v3, v3, 9, v2
	v_cmp_eq_u32_e32 vcc, s11, v7
	v_and_or_b32 v0, v1, s15, v0
	v_cndmask_b32_e32 v3, v4, v3, vcc
	v_lshrrev_b32_e32 v4, 16, v8
	v_cmp_ne_u32_e32 vcc, 0, v0
	v_and_or_b32 v4, v4, s14, v3
	v_cndmask_b32_e64 v0, 0, 1, vcc
	v_lshrrev_b32_e32 v3, 8, v1
	v_bfe_u32 v7, v1, 20, 11
	v_and_or_b32 v0, v3, s10, v0
	v_sub_u32_e32 v8, 0x3f1, v7
	v_or_b32_e32 v3, 0x1000, v0
	v_med3_i32 v8, v8, 0, 13
	v_lshrrev_b32_e32 v9, v8, v3
	v_lshlrev_b32_e32 v8, v8, v9
	v_cmp_ne_u32_e32 vcc, v8, v3
	v_cndmask_b32_e64 v3, 0, 1, vcc
	v_or_b32_e32 v3, v9, v3
	v_add_u32_e32 v9, 0xfffffc10, v7
	v_lshl_or_b32 v7, v9, 12, v0
	v_cmp_gt_i32_e32 vcc, 1, v9
	v_cndmask_b32_e32 v3, v7, v3, vcc
	v_and_b32_e32 v7, 7, v3
	v_cmp_lt_i32_e32 vcc, 5, v7
	v_cmp_eq_u32_e64 s[2:3], 3, v7
	v_lshrrev_b32_e32 v3, 2, v3
	s_or_b64 vcc, s[2:3], vcc
	v_addc_co_u32_e32 v3, vcc, 0, v3, vcc
	v_cmp_gt_i32_e32 vcc, 31, v9
	v_cndmask_b32_e32 v10, v2, v3, vcc
	v_add_u32_e32 v3, 0x200, v83
	ds_read2_b32 v[7:8], v3 offset0:122 offset1:247
	v_cmp_ne_u32_e32 vcc, 0, v0
	v_cndmask_b32_e64 v0, 0, 1, vcc
	v_lshl_or_b32 v0, v0, 9, v2
	v_cmp_eq_u32_e32 vcc, s11, v9
	v_cndmask_b32_e32 v0, v10, v0, vcc
	v_lshrrev_b32_e32 v1, 16, v1
	s_waitcnt lgkmcnt(0)
	v_lshrrev_b32_e32 v11, 16, v7
	v_and_or_b32 v9, v1, s14, v0
	v_mul_f16_sdwa v0, v94, v11 dst_sel:DWORD dst_unused:UNUSED_PAD src0_sel:WORD_1 src1_sel:DWORD
	v_fma_f16 v0, v94, v7, v0
	v_cvt_f32_f16_e32 v0, v0
	v_and_b32_e32 v4, 0xffff, v4
	v_lshl_or_b32 v12, v9, 16, v4
	s_mul_i32 s2, s9, 0x7d
	v_cvt_f64_f32_e32 v[0:1], v0
	s_mul_hi_u32 s3, s8, 0x7d
	s_add_i32 s3, s3, s2
	s_mul_i32 s2, s8, 0x7d
	v_mul_f64 v[9:10], v[0:1], s[12:13]
	s_lshl_b64 s[6:7], s[2:3], 2
	v_mov_b32_e32 v1, s7
	v_add_co_u32_e32 v4, vcc, s6, v5
	v_addc_co_u32_e32 v5, vcc, v6, v1, vcc
	global_store_dword v[4:5], v12, off
	v_and_or_b32 v0, v10, s15, v9
	v_cmp_ne_u32_e32 vcc, 0, v0
	v_cndmask_b32_e64 v0, 0, 1, vcc
	v_lshrrev_b32_e32 v6, 8, v10
	v_bfe_u32 v9, v10, 20, 11
	v_and_or_b32 v0, v6, s10, v0
	v_sub_u32_e32 v12, 0x3f1, v9
	v_or_b32_e32 v6, 0x1000, v0
	v_med3_i32 v12, v12, 0, 13
	v_lshrrev_b32_e32 v13, v12, v6
	v_mul_f16_sdwa v7, v94, v7 dst_sel:DWORD dst_unused:UNUSED_PAD src0_sel:WORD_1 src1_sel:DWORD
	v_lshlrev_b32_e32 v12, v12, v13
	v_fma_f16 v7, v94, v11, -v7
	v_cmp_ne_u32_e32 vcc, v12, v6
	v_cvt_f32_f16_e32 v7, v7
	v_cndmask_b32_e64 v6, 0, 1, vcc
	v_add_u32_e32 v9, 0xfffffc10, v9
	v_or_b32_e32 v6, v13, v6
	v_lshl_or_b32 v12, v9, 12, v0
	v_cmp_gt_i32_e32 vcc, 1, v9
	v_cndmask_b32_e32 v6, v12, v6, vcc
	v_and_b32_e32 v12, 7, v6
	v_lshrrev_b32_e32 v11, 2, v6
	v_cvt_f64_f32_e32 v[6:7], v7
	v_cmp_lt_i32_e32 vcc, 5, v12
	v_cmp_eq_u32_e64 s[2:3], 3, v12
	s_or_b64 vcc, s[2:3], vcc
	v_mul_f64 v[6:7], v[6:7], s[12:13]
	v_addc_co_u32_e32 v11, vcc, 0, v11, vcc
	v_cmp_gt_i32_e32 vcc, 31, v9
	v_cndmask_b32_e32 v11, v2, v11, vcc
	v_cmp_ne_u32_e32 vcc, 0, v0
	v_cndmask_b32_e64 v0, 0, 1, vcc
	v_lshl_or_b32 v0, v0, 9, v2
	v_cmp_eq_u32_e32 vcc, s11, v9
	v_and_or_b32 v6, v7, s15, v6
	v_cndmask_b32_e32 v0, v11, v0, vcc
	v_lshrrev_b32_e32 v9, 16, v10
	v_cmp_ne_u32_e32 vcc, 0, v6
	v_and_or_b32 v0, v9, s14, v0
	v_cndmask_b32_e64 v6, 0, 1, vcc
	v_lshrrev_b32_e32 v9, 8, v7
	v_bfe_u32 v10, v7, 20, 11
	v_and_or_b32 v6, v9, s10, v6
	v_sub_u32_e32 v11, 0x3f1, v10
	v_or_b32_e32 v9, 0x1000, v6
	v_med3_i32 v11, v11, 0, 13
	v_lshrrev_b32_e32 v12, v11, v9
	v_lshlrev_b32_e32 v11, v11, v12
	v_cmp_ne_u32_e32 vcc, v11, v9
	v_cndmask_b32_e64 v9, 0, 1, vcc
	v_add_u32_e32 v11, 0xfffffc10, v10
	v_or_b32_e32 v9, v12, v9
	v_lshl_or_b32 v10, v11, 12, v6
	v_cmp_gt_i32_e32 vcc, 1, v11
	v_cndmask_b32_e32 v9, v10, v9, vcc
	v_and_b32_e32 v10, 7, v9
	v_cmp_lt_i32_e32 vcc, 5, v10
	v_cmp_eq_u32_e64 s[2:3], 3, v10
	v_lshrrev_b32_e32 v9, 2, v9
	s_or_b64 vcc, s[2:3], vcc
	v_addc_co_u32_e32 v9, vcc, 0, v9, vcc
	v_cmp_gt_i32_e32 vcc, 31, v11
	v_lshrrev_b32_e32 v13, 16, v8
	v_cndmask_b32_e32 v12, v2, v9, vcc
	v_mul_f16_sdwa v9, v93, v13 dst_sel:DWORD dst_unused:UNUSED_PAD src0_sel:WORD_1 src1_sel:DWORD
	v_fma_f16 v9, v93, v8, v9
	v_cvt_f32_f16_e32 v9, v9
	v_cmp_ne_u32_e32 vcc, 0, v6
	v_cndmask_b32_e64 v6, 0, 1, vcc
	v_lshl_or_b32 v6, v6, 9, v2
	v_cvt_f64_f32_e32 v[9:10], v9
	v_cmp_eq_u32_e32 vcc, s11, v11
	v_cndmask_b32_e32 v6, v12, v6, vcc
	v_lshrrev_b32_e32 v7, 16, v7
	v_and_or_b32 v11, v7, s14, v6
	v_mul_f64 v[6:7], v[9:10], s[12:13]
	v_and_b32_e32 v0, 0xffff, v0
	v_add_co_u32_e32 v4, vcc, s6, v4
	v_lshl_or_b32 v0, v11, 16, v0
	v_addc_co_u32_e32 v5, vcc, v5, v1, vcc
	global_store_dword v[4:5], v0, off
	v_and_or_b32 v0, v7, s15, v6
	v_cmp_ne_u32_e32 vcc, 0, v0
	v_cndmask_b32_e64 v0, 0, 1, vcc
	v_lshrrev_b32_e32 v6, 8, v7
	v_bfe_u32 v9, v7, 20, 11
	v_and_or_b32 v0, v6, s10, v0
	v_sub_u32_e32 v10, 0x3f1, v9
	v_or_b32_e32 v6, 0x1000, v0
	v_med3_i32 v10, v10, 0, 13
	v_lshrrev_b32_e32 v11, v10, v6
	v_lshlrev_b32_e32 v10, v10, v11
	v_mul_f16_sdwa v8, v93, v8 dst_sel:DWORD dst_unused:UNUSED_PAD src0_sel:WORD_1 src1_sel:DWORD
	v_cmp_ne_u32_e32 vcc, v10, v6
	v_fma_f16 v8, v93, v13, -v8
	v_cndmask_b32_e64 v6, 0, 1, vcc
	v_add_u32_e32 v10, 0xfffffc10, v9
	v_cvt_f32_f16_e32 v8, v8
	v_or_b32_e32 v6, v11, v6
	v_lshl_or_b32 v9, v10, 12, v0
	v_cmp_gt_i32_e32 vcc, 1, v10
	v_cndmask_b32_e32 v6, v9, v6, vcc
	v_and_b32_e32 v9, 7, v6
	v_cmp_lt_i32_e32 vcc, 5, v9
	v_cmp_eq_u32_e64 s[2:3], 3, v9
	v_cvt_f64_f32_e32 v[8:9], v8
	v_lshrrev_b32_e32 v6, 2, v6
	s_or_b64 vcc, s[2:3], vcc
	v_addc_co_u32_e32 v6, vcc, 0, v6, vcc
	v_mul_f64 v[8:9], v[8:9], s[12:13]
	v_cmp_gt_i32_e32 vcc, 31, v10
	v_cndmask_b32_e32 v6, v2, v6, vcc
	v_cmp_ne_u32_e32 vcc, 0, v0
	v_cndmask_b32_e64 v0, 0, 1, vcc
	v_lshl_or_b32 v0, v0, 9, v2
	v_cmp_eq_u32_e32 vcc, s11, v10
	v_cndmask_b32_e32 v0, v6, v0, vcc
	v_lshrrev_b32_e32 v6, 16, v7
	v_and_or_b32 v0, v6, s14, v0
	v_and_or_b32 v6, v9, s15, v8
	v_cmp_ne_u32_e32 vcc, 0, v6
	v_cndmask_b32_e64 v6, 0, 1, vcc
	v_lshrrev_b32_e32 v7, 8, v9
	v_bfe_u32 v8, v9, 20, 11
	v_and_or_b32 v6, v7, s10, v6
	v_sub_u32_e32 v10, 0x3f1, v8
	v_or_b32_e32 v7, 0x1000, v6
	v_med3_i32 v10, v10, 0, 13
	v_lshrrev_b32_e32 v11, v10, v7
	v_lshlrev_b32_e32 v10, v10, v11
	v_cmp_ne_u32_e32 vcc, v10, v7
	v_cndmask_b32_e64 v7, 0, 1, vcc
	v_add_u32_e32 v8, 0xfffffc10, v8
	v_or_b32_e32 v7, v11, v7
	v_lshl_or_b32 v10, v8, 12, v6
	v_cmp_gt_i32_e32 vcc, 1, v8
	v_cndmask_b32_e32 v7, v10, v7, vcc
	v_and_b32_e32 v10, 7, v7
	v_lshrrev_b32_e32 v12, 2, v7
	v_add_u32_e32 v7, 0x600, v83
	v_cmp_lt_i32_e32 vcc, 5, v10
	v_cmp_eq_u32_e64 s[2:3], 3, v10
	ds_read2_b32 v[10:11], v7 offset0:116 offset1:241
	s_or_b64 vcc, s[2:3], vcc
	v_addc_co_u32_e32 v12, vcc, 0, v12, vcc
	v_cmp_gt_i32_e32 vcc, 31, v8
	s_waitcnt lgkmcnt(0)
	v_lshrrev_b32_e32 v15, 16, v10
	v_cndmask_b32_e32 v14, v2, v12, vcc
	v_mul_f16_sdwa v12, v92, v15 dst_sel:DWORD dst_unused:UNUSED_PAD src0_sel:WORD_1 src1_sel:DWORD
	v_fma_f16 v12, v92, v10, v12
	v_cvt_f32_f16_e32 v12, v12
	v_cmp_ne_u32_e32 vcc, 0, v6
	v_cndmask_b32_e64 v6, 0, 1, vcc
	v_lshl_or_b32 v6, v6, 9, v2
	v_cvt_f64_f32_e32 v[12:13], v12
	v_cmp_eq_u32_e32 vcc, s11, v8
	v_cndmask_b32_e32 v6, v14, v6, vcc
	v_lshrrev_b32_e32 v8, 16, v9
	v_and_or_b32 v6, v8, s14, v6
	v_mul_f64 v[8:9], v[12:13], s[12:13]
	v_and_b32_e32 v0, 0xffff, v0
	v_add_co_u32_e32 v4, vcc, s6, v4
	v_lshl_or_b32 v0, v6, 16, v0
	v_addc_co_u32_e32 v5, vcc, v5, v1, vcc
	global_store_dword v[4:5], v0, off
	v_and_or_b32 v0, v9, s15, v8
	v_cmp_ne_u32_e32 vcc, 0, v0
	v_cndmask_b32_e64 v0, 0, 1, vcc
	v_lshrrev_b32_e32 v6, 8, v9
	v_bfe_u32 v8, v9, 20, 11
	v_and_or_b32 v0, v6, s10, v0
	v_sub_u32_e32 v12, 0x3f1, v8
	v_or_b32_e32 v6, 0x1000, v0
	v_med3_i32 v12, v12, 0, 13
	v_lshrrev_b32_e32 v13, v12, v6
	v_lshlrev_b32_e32 v12, v12, v13
	v_mul_f16_sdwa v10, v92, v10 dst_sel:DWORD dst_unused:UNUSED_PAD src0_sel:WORD_1 src1_sel:DWORD
	v_cmp_ne_u32_e32 vcc, v12, v6
	v_fma_f16 v10, v92, v15, -v10
	v_cndmask_b32_e64 v6, 0, 1, vcc
	v_add_u32_e32 v8, 0xfffffc10, v8
	v_cvt_f32_f16_e32 v10, v10
	v_or_b32_e32 v6, v13, v6
	v_lshl_or_b32 v12, v8, 12, v0
	v_cmp_gt_i32_e32 vcc, 1, v8
	v_cndmask_b32_e32 v6, v12, v6, vcc
	v_and_b32_e32 v12, 7, v6
	v_cmp_lt_i32_e32 vcc, 5, v12
	v_cmp_eq_u32_e64 s[2:3], 3, v12
	v_cvt_f64_f32_e32 v[12:13], v10
	v_lshrrev_b32_e32 v6, 2, v6
	s_or_b64 vcc, s[2:3], vcc
	v_addc_co_u32_e32 v6, vcc, 0, v6, vcc
	v_mul_f64 v[12:13], v[12:13], s[12:13]
	v_cmp_gt_i32_e32 vcc, 31, v8
	v_cndmask_b32_e32 v6, v2, v6, vcc
	v_cmp_ne_u32_e32 vcc, 0, v0
	v_cndmask_b32_e64 v0, 0, 1, vcc
	v_lshl_or_b32 v0, v0, 9, v2
	v_cmp_eq_u32_e32 vcc, s11, v8
	v_cndmask_b32_e32 v0, v6, v0, vcc
	v_lshrrev_b32_e32 v6, 16, v9
	v_and_or_b32 v0, v6, s14, v0
	v_and_or_b32 v6, v13, s15, v12
	v_cmp_ne_u32_e32 vcc, 0, v6
	v_cndmask_b32_e64 v6, 0, 1, vcc
	v_lshrrev_b32_e32 v8, 8, v13
	v_bfe_u32 v9, v13, 20, 11
	v_and_or_b32 v6, v8, s10, v6
	v_sub_u32_e32 v10, 0x3f1, v9
	v_or_b32_e32 v8, 0x1000, v6
	v_med3_i32 v10, v10, 0, 13
	v_lshrrev_b32_e32 v12, v10, v8
	v_lshlrev_b32_e32 v10, v10, v12
	v_cmp_ne_u32_e32 vcc, v10, v8
	v_cndmask_b32_e64 v8, 0, 1, vcc
	v_add_u32_e32 v10, 0xfffffc10, v9
	v_or_b32_e32 v8, v12, v8
	v_lshl_or_b32 v9, v10, 12, v6
	v_cmp_gt_i32_e32 vcc, 1, v10
	v_cndmask_b32_e32 v8, v9, v8, vcc
	v_and_b32_e32 v9, 7, v8
	v_cmp_lt_i32_e32 vcc, 5, v9
	v_cmp_eq_u32_e64 s[2:3], 3, v9
	v_lshrrev_b32_e32 v8, 2, v8
	s_or_b64 vcc, s[2:3], vcc
	v_addc_co_u32_e32 v8, vcc, 0, v8, vcc
	v_cmp_gt_i32_e32 vcc, 31, v10
	v_lshrrev_b32_e32 v14, 16, v11
	v_cndmask_b32_e32 v12, v2, v8, vcc
	v_mul_f16_sdwa v8, v91, v14 dst_sel:DWORD dst_unused:UNUSED_PAD src0_sel:WORD_1 src1_sel:DWORD
	v_fma_f16 v8, v91, v11, v8
	v_cvt_f32_f16_e32 v8, v8
	v_cmp_ne_u32_e32 vcc, 0, v6
	v_cndmask_b32_e64 v6, 0, 1, vcc
	v_lshl_or_b32 v6, v6, 9, v2
	v_cvt_f64_f32_e32 v[8:9], v8
	v_cmp_eq_u32_e32 vcc, s11, v10
	v_cndmask_b32_e32 v6, v12, v6, vcc
	v_lshrrev_b32_e32 v10, 16, v13
	v_mul_f64 v[8:9], v[8:9], s[12:13]
	v_and_or_b32 v6, v10, s14, v6
	v_and_b32_e32 v0, 0xffff, v0
	v_add_co_u32_e32 v4, vcc, s6, v4
	v_lshl_or_b32 v0, v6, 16, v0
	v_addc_co_u32_e32 v5, vcc, v5, v1, vcc
	global_store_dword v[4:5], v0, off
	v_and_or_b32 v0, v9, s15, v8
	v_cmp_ne_u32_e32 vcc, 0, v0
	v_cndmask_b32_e64 v0, 0, 1, vcc
	v_lshrrev_b32_e32 v6, 8, v9
	v_bfe_u32 v8, v9, 20, 11
	v_and_or_b32 v0, v6, s10, v0
	v_sub_u32_e32 v10, 0x3f1, v8
	v_or_b32_e32 v6, 0x1000, v0
	v_med3_i32 v10, v10, 0, 13
	v_lshrrev_b32_e32 v12, v10, v6
	v_lshlrev_b32_e32 v10, v10, v12
	v_mul_f16_sdwa v11, v91, v11 dst_sel:DWORD dst_unused:UNUSED_PAD src0_sel:WORD_1 src1_sel:DWORD
	v_cmp_ne_u32_e32 vcc, v10, v6
	v_fma_f16 v11, v91, v14, -v11
	v_cndmask_b32_e64 v6, 0, 1, vcc
	v_add_u32_e32 v8, 0xfffffc10, v8
	v_cvt_f32_f16_e32 v11, v11
	v_or_b32_e32 v6, v12, v6
	v_lshl_or_b32 v10, v8, 12, v0
	v_cmp_gt_i32_e32 vcc, 1, v8
	v_cndmask_b32_e32 v6, v10, v6, vcc
	v_and_b32_e32 v10, 7, v6
	v_cmp_lt_i32_e32 vcc, 5, v10
	v_cmp_eq_u32_e64 s[2:3], 3, v10
	v_cvt_f64_f32_e32 v[10:11], v11
	v_lshrrev_b32_e32 v6, 2, v6
	s_or_b64 vcc, s[2:3], vcc
	v_addc_co_u32_e32 v6, vcc, 0, v6, vcc
	v_mul_f64 v[10:11], v[10:11], s[12:13]
	v_cmp_gt_i32_e32 vcc, 31, v8
	v_cndmask_b32_e32 v6, v2, v6, vcc
	v_cmp_ne_u32_e32 vcc, 0, v0
	v_cndmask_b32_e64 v0, 0, 1, vcc
	v_lshl_or_b32 v0, v0, 9, v2
	v_cmp_eq_u32_e32 vcc, s11, v8
	v_cndmask_b32_e32 v0, v6, v0, vcc
	v_lshrrev_b32_e32 v6, 16, v9
	v_and_or_b32 v0, v6, s14, v0
	v_and_or_b32 v6, v11, s15, v10
	v_cmp_ne_u32_e32 vcc, 0, v6
	v_cndmask_b32_e64 v6, 0, 1, vcc
	v_lshrrev_b32_e32 v8, 8, v11
	v_and_or_b32 v10, v8, s10, v6
	v_bfe_u32 v8, v11, 20, 11
	v_sub_u32_e32 v9, 0x3f1, v8
	v_or_b32_e32 v6, 0x1000, v10
	v_med3_i32 v9, v9, 0, 13
	v_lshrrev_b32_e32 v12, v9, v6
	v_lshlrev_b32_e32 v9, v9, v12
	v_cmp_ne_u32_e32 vcc, v9, v6
	v_cndmask_b32_e64 v6, 0, 1, vcc
	v_add_u32_e32 v14, 0xfffffc10, v8
	v_or_b32_e32 v6, v12, v6
	v_lshl_or_b32 v8, v14, 12, v10
	v_cmp_gt_i32_e32 vcc, 1, v14
	v_cndmask_b32_e32 v6, v8, v6, vcc
	v_and_b32_e32 v8, 7, v6
	v_lshrrev_b32_e32 v12, 2, v6
	v_add_u32_e32 v6, 0xa00, v83
	v_cmp_lt_i32_e32 vcc, 5, v8
	v_cmp_eq_u32_e64 s[2:3], 3, v8
	ds_read2_b32 v[8:9], v6 offset0:110 offset1:235
	s_or_b64 vcc, s[2:3], vcc
	v_addc_co_u32_e32 v12, vcc, 0, v12, vcc
	v_cmp_gt_i32_e32 vcc, 31, v14
	s_waitcnt lgkmcnt(0)
	v_lshrrev_b32_e32 v16, 16, v8
	v_cndmask_b32_e32 v15, v2, v12, vcc
	v_mul_f16_sdwa v12, v90, v16 dst_sel:DWORD dst_unused:UNUSED_PAD src0_sel:WORD_1 src1_sel:DWORD
	v_fma_f16 v12, v90, v8, v12
	v_cvt_f32_f16_e32 v12, v12
	v_cmp_ne_u32_e32 vcc, 0, v10
	v_cndmask_b32_e64 v10, 0, 1, vcc
	v_lshl_or_b32 v10, v10, 9, v2
	v_cvt_f64_f32_e32 v[12:13], v12
	v_cmp_eq_u32_e32 vcc, s11, v14
	v_cndmask_b32_e32 v10, v15, v10, vcc
	v_lshrrev_b32_e32 v11, 16, v11
	v_and_or_b32 v14, v11, s14, v10
	v_mul_f64 v[10:11], v[12:13], s[12:13]
	v_and_b32_e32 v0, 0xffff, v0
	v_add_co_u32_e32 v4, vcc, s6, v4
	v_lshl_or_b32 v0, v14, 16, v0
	v_addc_co_u32_e32 v5, vcc, v5, v1, vcc
	global_store_dword v[4:5], v0, off
	v_and_or_b32 v0, v11, s15, v10
	v_cmp_ne_u32_e32 vcc, 0, v0
	v_cndmask_b32_e64 v0, 0, 1, vcc
	v_lshrrev_b32_e32 v10, 8, v11
	v_bfe_u32 v12, v11, 20, 11
	v_and_or_b32 v0, v10, s10, v0
	v_sub_u32_e32 v13, 0x3f1, v12
	v_or_b32_e32 v10, 0x1000, v0
	v_med3_i32 v13, v13, 0, 13
	v_lshrrev_b32_e32 v14, v13, v10
	v_lshlrev_b32_e32 v13, v13, v14
	v_cmp_ne_u32_e32 vcc, v13, v10
	v_mul_f16_sdwa v8, v90, v8 dst_sel:DWORD dst_unused:UNUSED_PAD src0_sel:WORD_1 src1_sel:DWORD
	v_cndmask_b32_e64 v10, 0, 1, vcc
	v_fma_f16 v8, v90, v16, -v8
	v_or_b32_e32 v10, v14, v10
	v_add_u32_e32 v14, 0xfffffc10, v12
	v_cvt_f32_f16_e32 v8, v8
	v_lshl_or_b32 v12, v14, 12, v0
	v_cmp_gt_i32_e32 vcc, 1, v14
	v_cndmask_b32_e32 v10, v12, v10, vcc
	v_and_b32_e32 v12, 7, v10
	v_cmp_lt_i32_e32 vcc, 5, v12
	v_cmp_eq_u32_e64 s[2:3], 3, v12
	v_cvt_f64_f32_e32 v[12:13], v8
	v_lshrrev_b32_e32 v10, 2, v10
	s_or_b64 vcc, s[2:3], vcc
	v_addc_co_u32_e32 v8, vcc, 0, v10, vcc
	v_mul_f64 v[12:13], v[12:13], s[12:13]
	v_cmp_gt_i32_e32 vcc, 31, v14
	v_cndmask_b32_e32 v8, v2, v8, vcc
	v_cmp_ne_u32_e32 vcc, 0, v0
	v_cndmask_b32_e64 v0, 0, 1, vcc
	v_lshl_or_b32 v0, v0, 9, v2
	v_cmp_eq_u32_e32 vcc, s11, v14
	v_cndmask_b32_e32 v0, v8, v0, vcc
	v_lshrrev_b32_e32 v8, 16, v11
	v_and_or_b32 v0, v8, s14, v0
	v_and_or_b32 v8, v13, s15, v12
	v_cmp_ne_u32_e32 vcc, 0, v8
	v_cndmask_b32_e64 v8, 0, 1, vcc
	v_lshrrev_b32_e32 v10, 8, v13
	v_bfe_u32 v11, v13, 20, 11
	v_and_or_b32 v8, v10, s10, v8
	v_sub_u32_e32 v12, 0x3f1, v11
	v_or_b32_e32 v10, 0x1000, v8
	v_med3_i32 v12, v12, 0, 13
	v_lshrrev_b32_e32 v14, v12, v10
	v_lshlrev_b32_e32 v12, v12, v14
	v_cmp_ne_u32_e32 vcc, v12, v10
	v_cndmask_b32_e64 v10, 0, 1, vcc
	v_add_u32_e32 v12, 0xfffffc10, v11
	v_or_b32_e32 v10, v14, v10
	v_lshl_or_b32 v11, v12, 12, v8
	v_cmp_gt_i32_e32 vcc, 1, v12
	v_cndmask_b32_e32 v10, v11, v10, vcc
	v_and_b32_e32 v11, 7, v10
	v_cmp_lt_i32_e32 vcc, 5, v11
	v_cmp_eq_u32_e64 s[2:3], 3, v11
	v_lshrrev_b32_e32 v10, 2, v10
	s_or_b64 vcc, s[2:3], vcc
	v_addc_co_u32_e32 v10, vcc, 0, v10, vcc
	v_cmp_gt_i32_e32 vcc, 31, v12
	v_lshrrev_b32_e32 v15, 16, v9
	v_cndmask_b32_e32 v14, v2, v10, vcc
	v_mul_f16_sdwa v10, v89, v15 dst_sel:DWORD dst_unused:UNUSED_PAD src0_sel:WORD_1 src1_sel:DWORD
	v_fma_f16 v10, v89, v9, v10
	v_cvt_f32_f16_e32 v10, v10
	v_cmp_ne_u32_e32 vcc, 0, v8
	v_cndmask_b32_e64 v8, 0, 1, vcc
	v_lshl_or_b32 v8, v8, 9, v2
	v_cvt_f64_f32_e32 v[10:11], v10
	v_cmp_eq_u32_e32 vcc, s11, v12
	v_cndmask_b32_e32 v8, v14, v8, vcc
	v_lshrrev_b32_e32 v12, 16, v13
	v_mul_f64 v[10:11], v[10:11], s[12:13]
	v_and_or_b32 v8, v12, s14, v8
	v_and_b32_e32 v0, 0xffff, v0
	v_add_co_u32_e32 v12, vcc, s6, v4
	v_lshl_or_b32 v0, v8, 16, v0
	v_addc_co_u32_e32 v13, vcc, v5, v1, vcc
	global_store_dword v[12:13], v0, off
	v_and_or_b32 v0, v11, s15, v10
	v_cmp_ne_u32_e32 vcc, 0, v0
	v_cndmask_b32_e64 v0, 0, 1, vcc
	v_lshrrev_b32_e32 v4, 8, v11
	v_bfe_u32 v5, v11, 20, 11
	v_and_or_b32 v0, v4, s10, v0
	v_sub_u32_e32 v8, 0x3f1, v5
	v_or_b32_e32 v4, 0x1000, v0
	v_med3_i32 v8, v8, 0, 13
	v_lshrrev_b32_e32 v10, v8, v4
	v_lshlrev_b32_e32 v8, v8, v10
	v_cmp_ne_u32_e32 vcc, v8, v4
	v_mul_f16_sdwa v8, v89, v9 dst_sel:DWORD dst_unused:UNUSED_PAD src0_sel:WORD_1 src1_sel:DWORD
	v_cndmask_b32_e64 v4, 0, 1, vcc
	v_fma_f16 v8, v89, v15, -v8
	v_or_b32_e32 v4, v10, v4
	v_add_u32_e32 v10, 0xfffffc10, v5
	v_cvt_f32_f16_e32 v8, v8
	v_lshl_or_b32 v5, v10, 12, v0
	v_cmp_gt_i32_e32 vcc, 1, v10
	v_cndmask_b32_e32 v4, v5, v4, vcc
	v_and_b32_e32 v5, 7, v4
	v_cmp_lt_i32_e32 vcc, 5, v5
	v_cmp_eq_u32_e64 s[2:3], 3, v5
	v_lshrrev_b32_e32 v9, 2, v4
	v_cvt_f64_f32_e32 v[4:5], v8
	s_or_b64 vcc, s[2:3], vcc
	v_addc_co_u32_e32 v8, vcc, 0, v9, vcc
	v_cmp_gt_i32_e32 vcc, 31, v10
	v_cndmask_b32_e32 v14, v2, v8, vcc
	v_mul_f64 v[8:9], v[4:5], s[12:13]
	v_cmp_ne_u32_e32 vcc, 0, v0
	v_cndmask_b32_e64 v0, 0, 1, vcc
	v_lshl_or_b32 v0, v0, 9, v2
	v_cmp_eq_u32_e32 vcc, s11, v10
	v_cndmask_b32_e32 v0, v14, v0, vcc
	v_lshrrev_b32_e32 v4, 16, v11
	v_and_or_b32 v0, v4, s14, v0
	v_and_or_b32 v4, v9, s15, v8
	v_cmp_ne_u32_e32 vcc, 0, v4
	v_cndmask_b32_e64 v4, 0, 1, vcc
	v_lshrrev_b32_e32 v5, 8, v9
	v_bfe_u32 v8, v9, 20, 11
	v_and_or_b32 v4, v5, s10, v4
	v_sub_u32_e32 v10, 0x3f1, v8
	v_or_b32_e32 v5, 0x1000, v4
	v_med3_i32 v10, v10, 0, 13
	v_lshrrev_b32_e32 v11, v10, v5
	v_lshlrev_b32_e32 v10, v10, v11
	v_cmp_ne_u32_e32 vcc, v10, v5
	v_cndmask_b32_e64 v5, 0, 1, vcc
	v_add_u32_e32 v8, 0xfffffc10, v8
	v_or_b32_e32 v5, v11, v5
	v_lshl_or_b32 v10, v8, 12, v4
	v_cmp_gt_i32_e32 vcc, 1, v8
	v_cndmask_b32_e32 v5, v10, v5, vcc
	v_and_b32_e32 v10, 7, v5
	v_lshrrev_b32_e32 v14, 2, v5
	v_add_u32_e32 v5, 0xe00, v83
	v_cmp_lt_i32_e32 vcc, 5, v10
	v_cmp_eq_u32_e64 s[2:3], 3, v10
	ds_read2_b32 v[10:11], v5 offset0:104 offset1:229
	s_or_b64 vcc, s[2:3], vcc
	v_addc_co_u32_e32 v14, vcc, 0, v14, vcc
	v_cmp_gt_i32_e32 vcc, 31, v8
	s_waitcnt lgkmcnt(0)
	v_lshrrev_b32_e32 v17, 16, v10
	v_cndmask_b32_e32 v16, v2, v14, vcc
	v_mul_f16_sdwa v14, v88, v17 dst_sel:DWORD dst_unused:UNUSED_PAD src0_sel:WORD_1 src1_sel:DWORD
	v_fma_f16 v14, v88, v10, v14
	v_cvt_f32_f16_e32 v14, v14
	v_cmp_ne_u32_e32 vcc, 0, v4
	v_cndmask_b32_e64 v4, 0, 1, vcc
	v_lshl_or_b32 v4, v4, 9, v2
	v_cvt_f64_f32_e32 v[14:15], v14
	v_cmp_eq_u32_e32 vcc, s11, v8
	v_cndmask_b32_e32 v4, v16, v4, vcc
	v_lshrrev_b32_e32 v8, 16, v9
	v_and_or_b32 v4, v8, s14, v4
	v_mul_f64 v[8:9], v[14:15], s[12:13]
	v_and_b32_e32 v0, 0xffff, v0
	v_add_co_u32_e32 v12, vcc, s6, v12
	v_lshl_or_b32 v0, v4, 16, v0
	v_addc_co_u32_e32 v13, vcc, v13, v1, vcc
	global_store_dword v[12:13], v0, off
	v_and_or_b32 v0, v9, s15, v8
	v_cmp_ne_u32_e32 vcc, 0, v0
	v_cndmask_b32_e64 v0, 0, 1, vcc
	v_lshrrev_b32_e32 v4, 8, v9
	v_bfe_u32 v8, v9, 20, 11
	v_and_or_b32 v0, v4, s10, v0
	v_sub_u32_e32 v14, 0x3f1, v8
	v_or_b32_e32 v4, 0x1000, v0
	v_med3_i32 v14, v14, 0, 13
	v_lshrrev_b32_e32 v15, v14, v4
	v_lshlrev_b32_e32 v14, v14, v15
	v_mul_f16_sdwa v10, v88, v10 dst_sel:DWORD dst_unused:UNUSED_PAD src0_sel:WORD_1 src1_sel:DWORD
	v_cmp_ne_u32_e32 vcc, v14, v4
	v_fma_f16 v10, v88, v17, -v10
	v_cndmask_b32_e64 v4, 0, 1, vcc
	v_add_u32_e32 v8, 0xfffffc10, v8
	v_cvt_f32_f16_e32 v10, v10
	v_or_b32_e32 v4, v15, v4
	v_lshl_or_b32 v14, v8, 12, v0
	v_cmp_gt_i32_e32 vcc, 1, v8
	v_cndmask_b32_e32 v4, v14, v4, vcc
	v_and_b32_e32 v14, 7, v4
	v_cmp_lt_i32_e32 vcc, 5, v14
	v_cmp_eq_u32_e64 s[2:3], 3, v14
	v_cvt_f64_f32_e32 v[14:15], v10
	v_lshrrev_b32_e32 v4, 2, v4
	s_or_b64 vcc, s[2:3], vcc
	v_addc_co_u32_e32 v4, vcc, 0, v4, vcc
	v_mul_f64 v[14:15], v[14:15], s[12:13]
	v_cmp_gt_i32_e32 vcc, 31, v8
	v_cndmask_b32_e32 v4, v2, v4, vcc
	v_cmp_ne_u32_e32 vcc, 0, v0
	v_cndmask_b32_e64 v0, 0, 1, vcc
	v_lshl_or_b32 v0, v0, 9, v2
	v_cmp_eq_u32_e32 vcc, s11, v8
	v_cndmask_b32_e32 v0, v4, v0, vcc
	v_lshrrev_b32_e32 v4, 16, v9
	v_and_or_b32 v0, v4, s14, v0
	v_and_or_b32 v4, v15, s15, v14
	v_cmp_ne_u32_e32 vcc, 0, v4
	v_cndmask_b32_e64 v4, 0, 1, vcc
	v_lshrrev_b32_e32 v8, 8, v15
	v_bfe_u32 v9, v15, 20, 11
	v_and_or_b32 v4, v8, s10, v4
	v_sub_u32_e32 v10, 0x3f1, v9
	v_or_b32_e32 v8, 0x1000, v4
	v_med3_i32 v10, v10, 0, 13
	v_lshrrev_b32_e32 v14, v10, v8
	v_lshlrev_b32_e32 v10, v10, v14
	v_cmp_ne_u32_e32 vcc, v10, v8
	v_cndmask_b32_e64 v8, 0, 1, vcc
	v_add_u32_e32 v10, 0xfffffc10, v9
	v_or_b32_e32 v8, v14, v8
	v_lshl_or_b32 v9, v10, 12, v4
	v_cmp_gt_i32_e32 vcc, 1, v10
	v_cndmask_b32_e32 v8, v9, v8, vcc
	v_and_b32_e32 v9, 7, v8
	v_cmp_lt_i32_e32 vcc, 5, v9
	v_cmp_eq_u32_e64 s[2:3], 3, v9
	v_lshrrev_b32_e32 v8, 2, v8
	s_or_b64 vcc, s[2:3], vcc
	v_addc_co_u32_e32 v8, vcc, 0, v8, vcc
	v_cmp_gt_i32_e32 vcc, 31, v10
	v_lshrrev_b32_e32 v16, 16, v11
	v_cndmask_b32_e32 v14, v2, v8, vcc
	v_mul_f16_sdwa v8, v87, v16 dst_sel:DWORD dst_unused:UNUSED_PAD src0_sel:WORD_1 src1_sel:DWORD
	v_fma_f16 v8, v87, v11, v8
	v_cvt_f32_f16_e32 v8, v8
	v_cmp_ne_u32_e32 vcc, 0, v4
	v_cndmask_b32_e64 v4, 0, 1, vcc
	v_lshl_or_b32 v4, v4, 9, v2
	v_cvt_f64_f32_e32 v[8:9], v8
	v_cmp_eq_u32_e32 vcc, s11, v10
	v_cndmask_b32_e32 v4, v14, v4, vcc
	v_lshrrev_b32_e32 v10, 16, v15
	v_mul_f64 v[8:9], v[8:9], s[12:13]
	v_and_or_b32 v4, v10, s14, v4
	v_and_b32_e32 v0, 0xffff, v0
	v_add_co_u32_e32 v12, vcc, s6, v12
	v_lshl_or_b32 v0, v4, 16, v0
	v_addc_co_u32_e32 v13, vcc, v13, v1, vcc
	global_store_dword v[12:13], v0, off
	v_and_or_b32 v0, v9, s15, v8
	v_cmp_ne_u32_e32 vcc, 0, v0
	v_cndmask_b32_e64 v0, 0, 1, vcc
	v_lshrrev_b32_e32 v4, 8, v9
	v_bfe_u32 v8, v9, 20, 11
	v_and_or_b32 v0, v4, s10, v0
	v_sub_u32_e32 v10, 0x3f1, v8
	v_or_b32_e32 v4, 0x1000, v0
	v_med3_i32 v10, v10, 0, 13
	v_lshrrev_b32_e32 v14, v10, v4
	v_lshlrev_b32_e32 v10, v10, v14
	v_mul_f16_sdwa v11, v87, v11 dst_sel:DWORD dst_unused:UNUSED_PAD src0_sel:WORD_1 src1_sel:DWORD
	v_cmp_ne_u32_e32 vcc, v10, v4
	v_fma_f16 v11, v87, v16, -v11
	v_cndmask_b32_e64 v4, 0, 1, vcc
	v_add_u32_e32 v8, 0xfffffc10, v8
	v_cvt_f32_f16_e32 v11, v11
	v_or_b32_e32 v4, v14, v4
	v_lshl_or_b32 v10, v8, 12, v0
	v_cmp_gt_i32_e32 vcc, 1, v8
	v_cndmask_b32_e32 v4, v10, v4, vcc
	v_and_b32_e32 v10, 7, v4
	v_cmp_lt_i32_e32 vcc, 5, v10
	v_cmp_eq_u32_e64 s[2:3], 3, v10
	v_cvt_f64_f32_e32 v[10:11], v11
	v_lshrrev_b32_e32 v4, 2, v4
	s_or_b64 vcc, s[2:3], vcc
	v_addc_co_u32_e32 v4, vcc, 0, v4, vcc
	v_mul_f64 v[10:11], v[10:11], s[12:13]
	v_cmp_gt_i32_e32 vcc, 31, v8
	v_cndmask_b32_e32 v4, v2, v4, vcc
	v_cmp_ne_u32_e32 vcc, 0, v0
	v_cndmask_b32_e64 v0, 0, 1, vcc
	v_lshl_or_b32 v0, v0, 9, v2
	v_cmp_eq_u32_e32 vcc, s11, v8
	v_cndmask_b32_e32 v0, v4, v0, vcc
	v_lshrrev_b32_e32 v4, 16, v9
	v_and_or_b32 v0, v4, s14, v0
	v_and_or_b32 v4, v11, s15, v10
	v_cmp_ne_u32_e32 vcc, 0, v4
	v_cndmask_b32_e64 v4, 0, 1, vcc
	v_lshrrev_b32_e32 v8, 8, v11
	v_and_or_b32 v10, v8, s10, v4
	v_bfe_u32 v8, v11, 20, 11
	v_sub_u32_e32 v9, 0x3f1, v8
	v_or_b32_e32 v4, 0x1000, v10
	v_med3_i32 v9, v9, 0, 13
	v_lshrrev_b32_e32 v14, v9, v4
	v_lshlrev_b32_e32 v9, v9, v14
	v_cmp_ne_u32_e32 vcc, v9, v4
	v_cndmask_b32_e64 v4, 0, 1, vcc
	v_add_u32_e32 v16, 0xfffffc10, v8
	v_or_b32_e32 v4, v14, v4
	v_lshl_or_b32 v8, v16, 12, v10
	v_cmp_gt_i32_e32 vcc, 1, v16
	v_cndmask_b32_e32 v4, v8, v4, vcc
	v_and_b32_e32 v8, 7, v4
	v_lshrrev_b32_e32 v14, 2, v4
	v_add_u32_e32 v4, 0x1200, v83
	v_cmp_lt_i32_e32 vcc, 5, v8
	v_cmp_eq_u32_e64 s[2:3], 3, v8
	ds_read2_b32 v[8:9], v4 offset0:98 offset1:223
	s_or_b64 vcc, s[2:3], vcc
	v_addc_co_u32_e32 v14, vcc, 0, v14, vcc
	v_cmp_gt_i32_e32 vcc, 31, v16
	s_waitcnt lgkmcnt(0)
	v_lshrrev_b32_e32 v18, 16, v8
	v_cndmask_b32_e32 v17, v2, v14, vcc
	v_mul_f16_sdwa v14, v86, v18 dst_sel:DWORD dst_unused:UNUSED_PAD src0_sel:WORD_1 src1_sel:DWORD
	v_fma_f16 v14, v86, v8, v14
	v_cvt_f32_f16_e32 v14, v14
	v_cmp_ne_u32_e32 vcc, 0, v10
	v_cndmask_b32_e64 v10, 0, 1, vcc
	v_lshl_or_b32 v10, v10, 9, v2
	v_cvt_f64_f32_e32 v[14:15], v14
	v_cmp_eq_u32_e32 vcc, s11, v16
	v_cndmask_b32_e32 v10, v17, v10, vcc
	v_lshrrev_b32_e32 v11, 16, v11
	v_and_or_b32 v16, v11, s14, v10
	v_mul_f64 v[10:11], v[14:15], s[12:13]
	v_and_b32_e32 v0, 0xffff, v0
	v_add_co_u32_e32 v12, vcc, s6, v12
	v_lshl_or_b32 v0, v16, 16, v0
	v_addc_co_u32_e32 v13, vcc, v13, v1, vcc
	global_store_dword v[12:13], v0, off
	v_and_or_b32 v0, v11, s15, v10
	v_cmp_ne_u32_e32 vcc, 0, v0
	v_cndmask_b32_e64 v0, 0, 1, vcc
	v_lshrrev_b32_e32 v10, 8, v11
	v_bfe_u32 v14, v11, 20, 11
	v_and_or_b32 v0, v10, s10, v0
	v_sub_u32_e32 v15, 0x3f1, v14
	v_or_b32_e32 v10, 0x1000, v0
	v_med3_i32 v15, v15, 0, 13
	v_lshrrev_b32_e32 v16, v15, v10
	v_lshlrev_b32_e32 v15, v15, v16
	v_cmp_ne_u32_e32 vcc, v15, v10
	v_mul_f16_sdwa v8, v86, v8 dst_sel:DWORD dst_unused:UNUSED_PAD src0_sel:WORD_1 src1_sel:DWORD
	v_cndmask_b32_e64 v10, 0, 1, vcc
	v_fma_f16 v8, v86, v18, -v8
	v_or_b32_e32 v10, v16, v10
	v_add_u32_e32 v16, 0xfffffc10, v14
	v_cvt_f32_f16_e32 v8, v8
	v_lshl_or_b32 v14, v16, 12, v0
	v_cmp_gt_i32_e32 vcc, 1, v16
	v_cndmask_b32_e32 v10, v14, v10, vcc
	v_and_b32_e32 v14, 7, v10
	v_cmp_lt_i32_e32 vcc, 5, v14
	v_cmp_eq_u32_e64 s[2:3], 3, v14
	v_cvt_f64_f32_e32 v[14:15], v8
	v_lshrrev_b32_e32 v10, 2, v10
	s_or_b64 vcc, s[2:3], vcc
	v_addc_co_u32_e32 v8, vcc, 0, v10, vcc
	v_mul_f64 v[14:15], v[14:15], s[12:13]
	v_cmp_gt_i32_e32 vcc, 31, v16
	v_cndmask_b32_e32 v8, v2, v8, vcc
	v_cmp_ne_u32_e32 vcc, 0, v0
	v_cndmask_b32_e64 v0, 0, 1, vcc
	v_lshl_or_b32 v0, v0, 9, v2
	v_cmp_eq_u32_e32 vcc, s11, v16
	v_cndmask_b32_e32 v0, v8, v0, vcc
	v_lshrrev_b32_e32 v8, 16, v11
	v_and_or_b32 v0, v8, s14, v0
	v_and_or_b32 v8, v15, s15, v14
	v_cmp_ne_u32_e32 vcc, 0, v8
	v_cndmask_b32_e64 v8, 0, 1, vcc
	v_lshrrev_b32_e32 v10, 8, v15
	v_bfe_u32 v11, v15, 20, 11
	v_and_or_b32 v8, v10, s10, v8
	v_sub_u32_e32 v14, 0x3f1, v11
	v_or_b32_e32 v10, 0x1000, v8
	v_med3_i32 v14, v14, 0, 13
	v_lshrrev_b32_e32 v16, v14, v10
	v_lshlrev_b32_e32 v14, v14, v16
	v_cmp_ne_u32_e32 vcc, v14, v10
	v_cndmask_b32_e64 v10, 0, 1, vcc
	v_add_u32_e32 v14, 0xfffffc10, v11
	v_or_b32_e32 v10, v16, v10
	v_lshl_or_b32 v11, v14, 12, v8
	v_cmp_gt_i32_e32 vcc, 1, v14
	v_cndmask_b32_e32 v10, v11, v10, vcc
	v_and_b32_e32 v11, 7, v10
	v_cmp_lt_i32_e32 vcc, 5, v11
	v_cmp_eq_u32_e64 s[2:3], 3, v11
	v_lshrrev_b32_e32 v10, 2, v10
	s_or_b64 vcc, s[2:3], vcc
	v_addc_co_u32_e32 v10, vcc, 0, v10, vcc
	v_cmp_gt_i32_e32 vcc, 31, v14
	v_lshrrev_b32_e32 v17, 16, v9
	v_cndmask_b32_e32 v16, v2, v10, vcc
	v_mul_f16_sdwa v10, v85, v17 dst_sel:DWORD dst_unused:UNUSED_PAD src0_sel:WORD_1 src1_sel:DWORD
	v_fma_f16 v10, v85, v9, v10
	v_cvt_f32_f16_e32 v10, v10
	v_cmp_ne_u32_e32 vcc, 0, v8
	v_cndmask_b32_e64 v8, 0, 1, vcc
	v_lshl_or_b32 v8, v8, 9, v2
	v_cvt_f64_f32_e32 v[10:11], v10
	v_cmp_eq_u32_e32 vcc, s11, v14
	v_cndmask_b32_e32 v8, v16, v8, vcc
	v_lshrrev_b32_e32 v14, 16, v15
	v_mul_f64 v[10:11], v[10:11], s[12:13]
	v_and_or_b32 v8, v14, s14, v8
	v_and_b32_e32 v0, 0xffff, v0
	v_add_co_u32_e32 v12, vcc, s6, v12
	v_lshl_or_b32 v0, v8, 16, v0
	v_addc_co_u32_e32 v13, vcc, v13, v1, vcc
	global_store_dword v[12:13], v0, off
	v_and_or_b32 v0, v11, s15, v10
	v_cmp_ne_u32_e32 vcc, 0, v0
	v_cndmask_b32_e64 v0, 0, 1, vcc
	v_lshrrev_b32_e32 v8, 8, v11
	v_bfe_u32 v10, v11, 20, 11
	v_and_or_b32 v0, v8, s10, v0
	v_sub_u32_e32 v14, 0x3f1, v10
	v_or_b32_e32 v8, 0x1000, v0
	v_med3_i32 v14, v14, 0, 13
	v_lshrrev_b32_e32 v15, v14, v8
	v_lshlrev_b32_e32 v14, v14, v15
	v_mul_f16_sdwa v9, v85, v9 dst_sel:DWORD dst_unused:UNUSED_PAD src0_sel:WORD_1 src1_sel:DWORD
	v_cmp_ne_u32_e32 vcc, v14, v8
	v_fma_f16 v9, v85, v17, -v9
	v_cndmask_b32_e64 v8, 0, 1, vcc
	v_add_u32_e32 v10, 0xfffffc10, v10
	v_cvt_f32_f16_e32 v9, v9
	v_or_b32_e32 v8, v15, v8
	v_lshl_or_b32 v14, v10, 12, v0
	v_cmp_gt_i32_e32 vcc, 1, v10
	v_cndmask_b32_e32 v8, v14, v8, vcc
	v_and_b32_e32 v14, 7, v8
	v_cmp_lt_i32_e32 vcc, 5, v14
	v_cmp_eq_u32_e64 s[2:3], 3, v14
	v_lshrrev_b32_e32 v14, 2, v8
	v_cvt_f64_f32_e32 v[8:9], v9
	s_or_b64 vcc, s[2:3], vcc
	v_addc_co_u32_e32 v14, vcc, 0, v14, vcc
	v_mul_f64 v[8:9], v[8:9], s[12:13]
	v_cmp_gt_i32_e32 vcc, 31, v10
	v_cndmask_b32_e32 v14, v2, v14, vcc
	v_cmp_ne_u32_e32 vcc, 0, v0
	v_cndmask_b32_e64 v0, 0, 1, vcc
	v_lshl_or_b32 v0, v0, 9, v2
	v_cmp_eq_u32_e32 vcc, s11, v10
	v_cndmask_b32_e32 v0, v14, v0, vcc
	v_and_or_b32 v8, v9, s15, v8
	v_lshrrev_b32_e32 v10, 16, v11
	v_cmp_ne_u32_e32 vcc, 0, v8
	v_and_or_b32 v0, v10, s14, v0
	v_cndmask_b32_e64 v8, 0, 1, vcc
	v_lshrrev_b32_e32 v10, 8, v9
	v_bfe_u32 v11, v9, 20, 11
	v_and_or_b32 v8, v10, s10, v8
	v_sub_u32_e32 v14, 0x3f1, v11
	v_or_b32_e32 v10, 0x1000, v8
	v_med3_i32 v14, v14, 0, 13
	v_lshrrev_b32_e32 v15, v14, v10
	v_lshlrev_b32_e32 v14, v14, v15
	v_cmp_ne_u32_e32 vcc, v14, v10
	v_cndmask_b32_e64 v10, 0, 1, vcc
	v_add_u32_e32 v14, 0xfffffc10, v11
	v_or_b32_e32 v10, v15, v10
	v_lshl_or_b32 v11, v14, 12, v8
	v_cmp_gt_i32_e32 vcc, 1, v14
	v_cndmask_b32_e32 v10, v11, v10, vcc
	ds_read_b32 v15, v83 offset:6000
	v_and_b32_e32 v11, 7, v10
	v_cmp_lt_i32_e32 vcc, 5, v11
	v_cmp_eq_u32_e64 s[2:3], 3, v11
	v_lshrrev_b32_e32 v10, 2, v10
	s_or_b64 vcc, s[2:3], vcc
	v_addc_co_u32_e32 v10, vcc, 0, v10, vcc
	v_cmp_gt_i32_e32 vcc, 31, v14
	s_waitcnt lgkmcnt(0)
	v_lshrrev_b32_e32 v17, 16, v15
	v_cndmask_b32_e32 v16, v2, v10, vcc
	v_mul_f16_sdwa v10, v84, v17 dst_sel:DWORD dst_unused:UNUSED_PAD src0_sel:WORD_1 src1_sel:DWORD
	v_fma_f16 v10, v84, v15, v10
	v_cvt_f32_f16_e32 v10, v10
	v_cmp_ne_u32_e32 vcc, 0, v8
	v_cndmask_b32_e64 v8, 0, 1, vcc
	v_lshl_or_b32 v8, v8, 9, v2
	v_cvt_f64_f32_e32 v[10:11], v10
	v_cmp_eq_u32_e32 vcc, s11, v14
	v_cndmask_b32_e32 v8, v16, v8, vcc
	v_lshrrev_b32_e32 v9, 16, v9
	v_and_or_b32 v14, v9, s14, v8
	v_mul_f64 v[8:9], v[10:11], s[12:13]
	v_and_b32_e32 v0, 0xffff, v0
	v_add_co_u32_e32 v10, vcc, s6, v12
	v_lshl_or_b32 v0, v14, 16, v0
	v_addc_co_u32_e32 v11, vcc, v13, v1, vcc
	global_store_dword v[10:11], v0, off
	v_and_or_b32 v0, v9, s15, v8
	v_cmp_ne_u32_e32 vcc, 0, v0
	v_cndmask_b32_e64 v0, 0, 1, vcc
	v_lshrrev_b32_e32 v8, 8, v9
	v_bfe_u32 v12, v9, 20, 11
	v_and_or_b32 v0, v8, s10, v0
	v_sub_u32_e32 v13, 0x3f1, v12
	v_or_b32_e32 v8, 0x1000, v0
	v_med3_i32 v13, v13, 0, 13
	v_lshrrev_b32_e32 v14, v13, v8
	v_lshlrev_b32_e32 v13, v13, v14
	v_cmp_ne_u32_e32 vcc, v13, v8
	v_mul_f16_sdwa v13, v84, v15 dst_sel:DWORD dst_unused:UNUSED_PAD src0_sel:WORD_1 src1_sel:DWORD
	v_cndmask_b32_e64 v8, 0, 1, vcc
	v_fma_f16 v13, v84, v17, -v13
	v_or_b32_e32 v8, v14, v8
	v_add_u32_e32 v14, 0xfffffc10, v12
	v_cvt_f32_f16_e32 v13, v13
	v_lshl_or_b32 v12, v14, 12, v0
	v_cmp_gt_i32_e32 vcc, 1, v14
	v_cndmask_b32_e32 v8, v12, v8, vcc
	v_and_b32_e32 v12, 7, v8
	v_cmp_lt_i32_e32 vcc, 5, v12
	v_cmp_eq_u32_e64 s[2:3], 3, v12
	v_cvt_f64_f32_e32 v[12:13], v13
	v_lshrrev_b32_e32 v8, 2, v8
	s_or_b64 vcc, s[2:3], vcc
	v_addc_co_u32_e32 v8, vcc, 0, v8, vcc
	v_mul_f64 v[12:13], v[12:13], s[12:13]
	v_cmp_gt_i32_e32 vcc, 31, v14
	v_cndmask_b32_e32 v8, v2, v8, vcc
	v_cmp_ne_u32_e32 vcc, 0, v0
	v_cndmask_b32_e64 v0, 0, 1, vcc
	v_lshl_or_b32 v0, v0, 9, v2
	v_cmp_eq_u32_e32 vcc, s11, v14
	v_cndmask_b32_e32 v0, v8, v0, vcc
	v_lshrrev_b32_e32 v8, 16, v9
	v_and_or_b32 v0, v8, s14, v0
	v_and_or_b32 v8, v13, s15, v12
	v_cmp_ne_u32_e32 vcc, 0, v8
	v_cndmask_b32_e64 v8, 0, 1, vcc
	v_lshrrev_b32_e32 v9, 8, v13
	v_bfe_u32 v12, v13, 20, 11
	v_and_or_b32 v8, v9, s10, v8
	v_sub_u32_e32 v14, 0x3f1, v12
	v_or_b32_e32 v9, 0x1000, v8
	v_med3_i32 v14, v14, 0, 13
	v_lshrrev_b32_e32 v15, v14, v9
	v_lshlrev_b32_e32 v14, v14, v15
	v_cmp_ne_u32_e32 vcc, v14, v9
	v_cndmask_b32_e64 v9, 0, 1, vcc
	v_add_u32_e32 v12, 0xfffffc10, v12
	v_or_b32_e32 v9, v15, v9
	v_lshl_or_b32 v14, v12, 12, v8
	v_cmp_gt_i32_e32 vcc, 1, v12
	v_cndmask_b32_e32 v9, v14, v9, vcc
	v_and_b32_e32 v14, 7, v9
	v_cmp_lt_i32_e32 vcc, 5, v14
	v_cmp_eq_u32_e64 s[2:3], 3, v14
	v_lshrrev_b32_e32 v9, 2, v9
	s_or_b64 vcc, s[2:3], vcc
	v_addc_co_u32_e32 v9, vcc, 0, v9, vcc
	v_cmp_gt_i32_e32 vcc, 31, v12
	v_cndmask_b32_e32 v9, v2, v9, vcc
	v_cmp_ne_u32_e32 vcc, 0, v8
	v_cndmask_b32_e64 v8, 0, 1, vcc
	v_lshl_or_b32 v8, v8, 9, v2
	v_cmp_eq_u32_e32 vcc, s11, v12
	v_cndmask_b32_e32 v8, v9, v8, vcc
	v_lshrrev_b32_e32 v9, 16, v13
	v_and_or_b32 v8, v9, s14, v8
	v_and_b32_e32 v0, 0xffff, v0
	v_lshl_or_b32 v8, v8, 16, v0
	v_add_co_u32_e32 v0, vcc, s6, v10
	v_addc_co_u32_e32 v1, vcc, v11, v1, vcc
	global_store_dword v[0:1], v8, off
	s_and_b64 exec, exec, s[0:1]
	s_cbranch_execz .LBB0_15
; %bb.14:
	global_load_dword v8, v[56:57], off offset:260
	ds_read_b32 v9, v99 offset:260
	v_mov_b32_e32 v12, 0xffffe994
	v_mad_u64_u32 v[0:1], s[0:1], s8, v12, v[0:1]
	s_mul_i32 s0, s9, 0xffffe994
	s_waitcnt lgkmcnt(0)
	v_lshrrev_b32_e32 v10, 16, v9
	s_sub_i32 s0, s0, s8
	v_add_u32_e32 v1, s0, v1
	s_waitcnt vmcnt(0)
	v_mul_f16_sdwa v11, v10, v8 dst_sel:DWORD dst_unused:UNUSED_PAD src0_sel:DWORD src1_sel:WORD_1
	v_fma_f16 v11, v9, v8, v11
	v_mul_f16_sdwa v9, v9, v8 dst_sel:DWORD dst_unused:UNUSED_PAD src0_sel:DWORD src1_sel:WORD_1
	v_cvt_f32_f16_e32 v11, v11
	v_fma_f16 v8, v8, v10, -v9
	v_cvt_f32_f16_e32 v10, v8
	v_cvt_f64_f32_e32 v[8:9], v11
	v_cvt_f64_f32_e32 v[10:11], v10
	v_mul_f64 v[8:9], v[8:9], s[12:13]
	v_mul_f64 v[10:11], v[10:11], s[12:13]
	v_and_or_b32 v8, v9, s15, v8
	v_cmp_ne_u32_e32 vcc, 0, v8
	v_and_or_b32 v10, v11, s15, v10
	v_lshrrev_b32_e32 v12, 8, v9
	v_bfe_u32 v13, v9, 20, 11
	v_cndmask_b32_e64 v8, 0, 1, vcc
	v_cmp_ne_u32_e32 vcc, 0, v10
	v_lshrrev_b32_e32 v14, 8, v11
	v_bfe_u32 v15, v11, 20, 11
	v_sub_u32_e32 v16, 0x3f1, v13
	v_cndmask_b32_e64 v10, 0, 1, vcc
	v_and_or_b32 v8, v12, s10, v8
	v_sub_u32_e32 v17, 0x3f1, v15
	v_med3_i32 v12, v16, 0, 13
	v_and_or_b32 v10, v14, s10, v10
	v_or_b32_e32 v16, 0x1000, v8
	v_add_u32_e32 v13, 0xfffffc10, v13
	v_med3_i32 v14, v17, 0, 13
	v_cmp_ne_u32_e32 vcc, 0, v8
	v_or_b32_e32 v18, 0x1000, v10
	v_lshrrev_b32_e32 v20, v12, v16
	v_add_u32_e32 v15, 0xfffffc10, v15
	v_lshl_or_b32 v17, v13, 12, v8
	v_cndmask_b32_e64 v8, 0, 1, vcc
	v_cmp_ne_u32_e32 vcc, 0, v10
	v_lshrrev_b32_e32 v21, v14, v18
	v_lshlrev_b32_e32 v12, v12, v20
	v_lshl_or_b32 v19, v15, 12, v10
	v_cndmask_b32_e64 v10, 0, 1, vcc
	v_lshlrev_b32_e32 v14, v14, v21
	v_cmp_ne_u32_e32 vcc, v12, v16
	v_cndmask_b32_e64 v12, 0, 1, vcc
	v_cmp_ne_u32_e32 vcc, v14, v18
	v_cndmask_b32_e64 v14, 0, 1, vcc
	v_or_b32_e32 v12, v20, v12
	v_cmp_gt_i32_e32 vcc, 1, v13
	v_cndmask_b32_e32 v12, v17, v12, vcc
	v_or_b32_e32 v14, v21, v14
	v_cmp_gt_i32_e32 vcc, 1, v15
	v_and_b32_e32 v16, 7, v12
	v_cndmask_b32_e32 v14, v19, v14, vcc
	v_cmp_lt_i32_e32 vcc, 5, v16
	v_cmp_eq_u32_e64 s[0:1], 3, v16
	v_lshrrev_b32_e32 v12, 2, v12
	v_and_b32_e32 v17, 7, v14
	s_or_b64 vcc, s[0:1], vcc
	v_cmp_lt_i32_e64 s[2:3], 5, v17
	v_cmp_eq_u32_e64 s[4:5], 3, v17
	v_addc_co_u32_e32 v12, vcc, 0, v12, vcc
	v_lshrrev_b32_e32 v14, 2, v14
	s_or_b64 vcc, s[4:5], s[2:3]
	v_addc_co_u32_e32 v14, vcc, 0, v14, vcc
	v_cmp_gt_i32_e32 vcc, 31, v13
	v_cndmask_b32_e32 v12, v2, v12, vcc
	v_cmp_gt_i32_e32 vcc, 31, v15
	v_lshl_or_b32 v8, v8, 9, v2
	v_cndmask_b32_e32 v14, v2, v14, vcc
	v_cmp_eq_u32_e32 vcc, s11, v13
	v_lshrrev_b32_e32 v9, 16, v9
	v_lshl_or_b32 v10, v10, 9, v2
	v_cndmask_b32_e32 v8, v12, v8, vcc
	v_cmp_eq_u32_e32 vcc, s11, v15
	v_lshrrev_b32_e32 v11, 16, v11
	v_cndmask_b32_e32 v10, v14, v10, vcc
	v_and_or_b32 v8, v9, s14, v8
	v_and_or_b32 v9, v11, s14, v10
	v_and_b32_e32 v8, 0xffff, v8
	v_lshl_or_b32 v8, v9, 16, v8
	global_store_dword v[0:1], v8, off
	global_load_dword v10, v[56:57], off offset:760
	ds_read2_b32 v[8:9], v3 offset0:62 offset1:187
	v_add_co_u32_e32 v0, vcc, s6, v0
	s_waitcnt lgkmcnt(0)
	v_lshrrev_b32_e32 v3, 16, v8
	s_waitcnt vmcnt(0)
	v_mul_f16_sdwa v11, v3, v10 dst_sel:DWORD dst_unused:UNUSED_PAD src0_sel:DWORD src1_sel:WORD_1
	v_fma_f16 v11, v8, v10, v11
	v_mul_f16_sdwa v8, v8, v10 dst_sel:DWORD dst_unused:UNUSED_PAD src0_sel:DWORD src1_sel:WORD_1
	v_cvt_f32_f16_e32 v11, v11
	v_fma_f16 v3, v10, v3, -v8
	v_cvt_f32_f16_e32 v3, v3
	v_cvt_f64_f32_e32 v[10:11], v11
	v_cvt_f64_f32_e32 v[12:13], v3
	v_mov_b32_e32 v3, s7
	v_mul_f64 v[10:11], v[10:11], s[12:13]
	v_addc_co_u32_e32 v1, vcc, v1, v3, vcc
	v_mul_f64 v[12:13], v[12:13], s[12:13]
	v_and_or_b32 v8, v11, s15, v10
	v_cmp_ne_u32_e32 vcc, 0, v8
	v_lshrrev_b32_e32 v10, 8, v11
	v_and_or_b32 v12, v13, s15, v12
	v_bfe_u32 v14, v11, 20, 11
	v_cndmask_b32_e64 v8, 0, 1, vcc
	v_cmp_ne_u32_e32 vcc, 0, v12
	v_lshrrev_b32_e32 v15, 8, v13
	v_bfe_u32 v16, v13, 20, 11
	v_sub_u32_e32 v17, 0x3f1, v14
	v_cndmask_b32_e64 v12, 0, 1, vcc
	v_and_or_b32 v8, v10, s10, v8
	v_sub_u32_e32 v18, 0x3f1, v16
	v_med3_i32 v10, v17, 0, 13
	v_and_or_b32 v12, v15, s10, v12
	v_or_b32_e32 v17, 0x1000, v8
	v_add_u32_e32 v14, 0xfffffc10, v14
	v_med3_i32 v15, v18, 0, 13
	v_cmp_ne_u32_e32 vcc, 0, v8
	v_or_b32_e32 v19, 0x1000, v12
	v_lshrrev_b32_e32 v21, v10, v17
	v_add_u32_e32 v16, 0xfffffc10, v16
	v_lshl_or_b32 v18, v14, 12, v8
	v_cndmask_b32_e64 v8, 0, 1, vcc
	v_cmp_ne_u32_e32 vcc, 0, v12
	v_lshrrev_b32_e32 v22, v15, v19
	v_lshlrev_b32_e32 v10, v10, v21
	v_lshl_or_b32 v20, v16, 12, v12
	v_cndmask_b32_e64 v12, 0, 1, vcc
	v_lshlrev_b32_e32 v15, v15, v22
	v_cmp_ne_u32_e32 vcc, v10, v17
	v_cndmask_b32_e64 v10, 0, 1, vcc
	v_cmp_ne_u32_e32 vcc, v15, v19
	v_cndmask_b32_e64 v15, 0, 1, vcc
	v_or_b32_e32 v10, v21, v10
	v_cmp_gt_i32_e32 vcc, 1, v14
	v_cndmask_b32_e32 v10, v18, v10, vcc
	v_or_b32_e32 v15, v22, v15
	v_cmp_gt_i32_e32 vcc, 1, v16
	v_and_b32_e32 v17, 7, v10
	v_cndmask_b32_e32 v15, v20, v15, vcc
	v_cmp_lt_i32_e32 vcc, 5, v17
	v_cmp_eq_u32_e64 s[0:1], 3, v17
	v_lshrrev_b32_e32 v10, 2, v10
	v_and_b32_e32 v18, 7, v15
	s_or_b64 vcc, s[0:1], vcc
	v_cmp_lt_i32_e64 s[2:3], 5, v18
	v_cmp_eq_u32_e64 s[4:5], 3, v18
	v_addc_co_u32_e32 v10, vcc, 0, v10, vcc
	v_lshrrev_b32_e32 v15, 2, v15
	s_or_b64 vcc, s[4:5], s[2:3]
	v_addc_co_u32_e32 v15, vcc, 0, v15, vcc
	v_cmp_gt_i32_e32 vcc, 31, v14
	v_cndmask_b32_e32 v10, v2, v10, vcc
	v_cmp_gt_i32_e32 vcc, 31, v16
	v_lshl_or_b32 v8, v8, 9, v2
	v_cndmask_b32_e32 v15, v2, v15, vcc
	v_cmp_eq_u32_e32 vcc, s11, v14
	v_lshrrev_b32_e32 v11, 16, v11
	v_lshl_or_b32 v12, v12, 9, v2
	v_cndmask_b32_e32 v8, v10, v8, vcc
	v_cmp_eq_u32_e32 vcc, s11, v16
	v_lshrrev_b32_e32 v13, 16, v13
	v_cndmask_b32_e32 v10, v15, v12, vcc
	v_and_or_b32 v8, v11, s14, v8
	v_and_or_b32 v10, v13, s14, v10
	v_and_b32_e32 v8, 0xffff, v8
	v_lshl_or_b32 v8, v10, 16, v8
	global_store_dword v[0:1], v8, off
	global_load_dword v8, v[56:57], off offset:1260
	v_lshrrev_b32_e32 v10, 16, v9
	v_add_co_u32_e32 v0, vcc, s6, v0
	v_addc_co_u32_e32 v1, vcc, v1, v3, vcc
	s_waitcnt vmcnt(0)
	v_mul_f16_sdwa v11, v10, v8 dst_sel:DWORD dst_unused:UNUSED_PAD src0_sel:DWORD src1_sel:WORD_1
	v_fma_f16 v11, v9, v8, v11
	v_mul_f16_sdwa v9, v9, v8 dst_sel:DWORD dst_unused:UNUSED_PAD src0_sel:DWORD src1_sel:WORD_1
	v_cvt_f32_f16_e32 v11, v11
	v_fma_f16 v8, v8, v10, -v9
	v_cvt_f32_f16_e32 v10, v8
	v_cvt_f64_f32_e32 v[8:9], v11
	v_cvt_f64_f32_e32 v[10:11], v10
	v_mul_f64 v[8:9], v[8:9], s[12:13]
	v_mul_f64 v[10:11], v[10:11], s[12:13]
	v_and_or_b32 v8, v9, s15, v8
	v_cmp_ne_u32_e32 vcc, 0, v8
	v_and_or_b32 v10, v11, s15, v10
	v_lshrrev_b32_e32 v12, 8, v9
	v_bfe_u32 v13, v9, 20, 11
	v_cndmask_b32_e64 v8, 0, 1, vcc
	v_cmp_ne_u32_e32 vcc, 0, v10
	v_lshrrev_b32_e32 v14, 8, v11
	v_bfe_u32 v15, v11, 20, 11
	v_sub_u32_e32 v16, 0x3f1, v13
	v_cndmask_b32_e64 v10, 0, 1, vcc
	v_and_or_b32 v8, v12, s10, v8
	v_sub_u32_e32 v17, 0x3f1, v15
	v_med3_i32 v12, v16, 0, 13
	v_and_or_b32 v10, v14, s10, v10
	v_or_b32_e32 v16, 0x1000, v8
	v_add_u32_e32 v13, 0xfffffc10, v13
	v_med3_i32 v14, v17, 0, 13
	v_cmp_ne_u32_e32 vcc, 0, v8
	v_or_b32_e32 v18, 0x1000, v10
	v_lshrrev_b32_e32 v20, v12, v16
	v_add_u32_e32 v15, 0xfffffc10, v15
	v_lshl_or_b32 v17, v13, 12, v8
	v_cndmask_b32_e64 v8, 0, 1, vcc
	v_cmp_ne_u32_e32 vcc, 0, v10
	v_lshrrev_b32_e32 v21, v14, v18
	v_lshlrev_b32_e32 v12, v12, v20
	v_lshl_or_b32 v19, v15, 12, v10
	v_cndmask_b32_e64 v10, 0, 1, vcc
	v_lshlrev_b32_e32 v14, v14, v21
	v_cmp_ne_u32_e32 vcc, v12, v16
	v_cndmask_b32_e64 v12, 0, 1, vcc
	v_cmp_ne_u32_e32 vcc, v14, v18
	v_cndmask_b32_e64 v14, 0, 1, vcc
	v_or_b32_e32 v12, v20, v12
	v_cmp_gt_i32_e32 vcc, 1, v13
	v_cndmask_b32_e32 v12, v17, v12, vcc
	v_or_b32_e32 v14, v21, v14
	v_cmp_gt_i32_e32 vcc, 1, v15
	v_and_b32_e32 v16, 7, v12
	v_cndmask_b32_e32 v14, v19, v14, vcc
	v_cmp_lt_i32_e32 vcc, 5, v16
	v_cmp_eq_u32_e64 s[0:1], 3, v16
	v_lshrrev_b32_e32 v12, 2, v12
	v_and_b32_e32 v17, 7, v14
	s_or_b64 vcc, s[0:1], vcc
	v_cmp_lt_i32_e64 s[2:3], 5, v17
	v_cmp_eq_u32_e64 s[4:5], 3, v17
	v_addc_co_u32_e32 v12, vcc, 0, v12, vcc
	v_lshrrev_b32_e32 v14, 2, v14
	s_or_b64 vcc, s[4:5], s[2:3]
	v_addc_co_u32_e32 v14, vcc, 0, v14, vcc
	v_cmp_gt_i32_e32 vcc, 31, v13
	v_cndmask_b32_e32 v12, v2, v12, vcc
	v_cmp_gt_i32_e32 vcc, 31, v15
	v_lshl_or_b32 v8, v8, 9, v2
	v_cndmask_b32_e32 v14, v2, v14, vcc
	v_cmp_eq_u32_e32 vcc, s11, v13
	v_lshrrev_b32_e32 v9, 16, v9
	v_lshl_or_b32 v10, v10, 9, v2
	v_cndmask_b32_e32 v8, v12, v8, vcc
	v_cmp_eq_u32_e32 vcc, s11, v15
	v_lshrrev_b32_e32 v11, 16, v11
	v_cndmask_b32_e32 v10, v14, v10, vcc
	v_and_or_b32 v8, v9, s14, v8
	v_and_or_b32 v9, v11, s14, v10
	v_and_b32_e32 v8, 0xffff, v8
	v_lshl_or_b32 v8, v9, 16, v8
	global_store_dword v[0:1], v8, off
	global_load_dword v9, v[56:57], off offset:1760
	ds_read2_b32 v[7:8], v7 offset0:56 offset1:181
	v_add_co_u32_e32 v0, vcc, s6, v0
	v_addc_co_u32_e32 v1, vcc, v1, v3, vcc
	s_waitcnt lgkmcnt(0)
	v_lshrrev_b32_e32 v10, 16, v7
	s_waitcnt vmcnt(0)
	v_mul_f16_sdwa v11, v10, v9 dst_sel:DWORD dst_unused:UNUSED_PAD src0_sel:DWORD src1_sel:WORD_1
	v_fma_f16 v11, v7, v9, v11
	v_mul_f16_sdwa v7, v7, v9 dst_sel:DWORD dst_unused:UNUSED_PAD src0_sel:DWORD src1_sel:WORD_1
	v_cvt_f32_f16_e32 v11, v11
	v_fma_f16 v7, v9, v10, -v7
	v_cvt_f32_f16_e32 v7, v7
	v_cvt_f64_f32_e32 v[9:10], v11
	v_cvt_f64_f32_e32 v[11:12], v7
	v_mul_f64 v[9:10], v[9:10], s[12:13]
	v_mul_f64 v[11:12], v[11:12], s[12:13]
	v_and_or_b32 v7, v10, s15, v9
	v_cmp_ne_u32_e32 vcc, 0, v7
	v_and_or_b32 v11, v12, s15, v11
	v_lshrrev_b32_e32 v9, 8, v10
	v_bfe_u32 v13, v10, 20, 11
	v_cndmask_b32_e64 v7, 0, 1, vcc
	v_cmp_ne_u32_e32 vcc, 0, v11
	v_lshrrev_b32_e32 v14, 8, v12
	v_bfe_u32 v15, v12, 20, 11
	v_sub_u32_e32 v16, 0x3f1, v13
	v_cndmask_b32_e64 v11, 0, 1, vcc
	v_and_or_b32 v7, v9, s10, v7
	v_sub_u32_e32 v17, 0x3f1, v15
	v_med3_i32 v9, v16, 0, 13
	v_and_or_b32 v11, v14, s10, v11
	v_or_b32_e32 v16, 0x1000, v7
	v_add_u32_e32 v13, 0xfffffc10, v13
	v_med3_i32 v14, v17, 0, 13
	v_cmp_ne_u32_e32 vcc, 0, v7
	v_or_b32_e32 v18, 0x1000, v11
	v_lshrrev_b32_e32 v20, v9, v16
	v_add_u32_e32 v15, 0xfffffc10, v15
	v_lshl_or_b32 v17, v13, 12, v7
	v_cndmask_b32_e64 v7, 0, 1, vcc
	v_cmp_ne_u32_e32 vcc, 0, v11
	v_lshrrev_b32_e32 v21, v14, v18
	v_lshlrev_b32_e32 v9, v9, v20
	v_lshl_or_b32 v19, v15, 12, v11
	v_cndmask_b32_e64 v11, 0, 1, vcc
	v_lshlrev_b32_e32 v14, v14, v21
	v_cmp_ne_u32_e32 vcc, v9, v16
	v_cndmask_b32_e64 v9, 0, 1, vcc
	v_cmp_ne_u32_e32 vcc, v14, v18
	v_cndmask_b32_e64 v14, 0, 1, vcc
	v_or_b32_e32 v9, v20, v9
	v_cmp_gt_i32_e32 vcc, 1, v13
	v_cndmask_b32_e32 v9, v17, v9, vcc
	v_or_b32_e32 v14, v21, v14
	v_cmp_gt_i32_e32 vcc, 1, v15
	v_and_b32_e32 v16, 7, v9
	v_cndmask_b32_e32 v14, v19, v14, vcc
	v_cmp_lt_i32_e32 vcc, 5, v16
	v_cmp_eq_u32_e64 s[0:1], 3, v16
	v_lshrrev_b32_e32 v9, 2, v9
	v_and_b32_e32 v17, 7, v14
	s_or_b64 vcc, s[0:1], vcc
	v_cmp_lt_i32_e64 s[2:3], 5, v17
	v_cmp_eq_u32_e64 s[4:5], 3, v17
	v_addc_co_u32_e32 v9, vcc, 0, v9, vcc
	v_lshrrev_b32_e32 v14, 2, v14
	s_or_b64 vcc, s[4:5], s[2:3]
	v_addc_co_u32_e32 v14, vcc, 0, v14, vcc
	v_cmp_gt_i32_e32 vcc, 31, v13
	v_cndmask_b32_e32 v9, v2, v9, vcc
	v_cmp_gt_i32_e32 vcc, 31, v15
	v_lshl_or_b32 v7, v7, 9, v2
	v_cndmask_b32_e32 v14, v2, v14, vcc
	v_cmp_eq_u32_e32 vcc, s11, v13
	v_lshrrev_b32_e32 v10, 16, v10
	v_lshl_or_b32 v11, v11, 9, v2
	v_cndmask_b32_e32 v7, v9, v7, vcc
	v_cmp_eq_u32_e32 vcc, s11, v15
	v_lshrrev_b32_e32 v12, 16, v12
	v_cndmask_b32_e32 v9, v14, v11, vcc
	v_and_or_b32 v7, v10, s14, v7
	v_and_or_b32 v9, v12, s14, v9
	v_and_b32_e32 v7, 0xffff, v7
	v_lshl_or_b32 v7, v9, 16, v7
	global_store_dword v[0:1], v7, off
	global_load_dword v7, v[56:57], off offset:2260
	v_lshrrev_b32_e32 v9, 16, v8
	v_add_co_u32_e32 v0, vcc, s6, v0
	v_addc_co_u32_e32 v1, vcc, v1, v3, vcc
	s_waitcnt vmcnt(0)
	v_mul_f16_sdwa v10, v9, v7 dst_sel:DWORD dst_unused:UNUSED_PAD src0_sel:DWORD src1_sel:WORD_1
	v_fma_f16 v10, v8, v7, v10
	v_mul_f16_sdwa v8, v8, v7 dst_sel:DWORD dst_unused:UNUSED_PAD src0_sel:DWORD src1_sel:WORD_1
	v_cvt_f32_f16_e32 v10, v10
	v_fma_f16 v7, v7, v9, -v8
	v_cvt_f32_f16_e32 v9, v7
	v_cvt_f64_f32_e32 v[7:8], v10
	v_cvt_f64_f32_e32 v[9:10], v9
	v_mul_f64 v[7:8], v[7:8], s[12:13]
	v_mul_f64 v[9:10], v[9:10], s[12:13]
	v_and_or_b32 v7, v8, s15, v7
	v_cmp_ne_u32_e32 vcc, 0, v7
	v_and_or_b32 v9, v10, s15, v9
	v_lshrrev_b32_e32 v11, 8, v8
	v_bfe_u32 v12, v8, 20, 11
	v_cndmask_b32_e64 v7, 0, 1, vcc
	v_cmp_ne_u32_e32 vcc, 0, v9
	v_lshrrev_b32_e32 v13, 8, v10
	v_bfe_u32 v14, v10, 20, 11
	v_sub_u32_e32 v15, 0x3f1, v12
	v_cndmask_b32_e64 v9, 0, 1, vcc
	v_and_or_b32 v7, v11, s10, v7
	v_sub_u32_e32 v16, 0x3f1, v14
	v_med3_i32 v11, v15, 0, 13
	v_and_or_b32 v9, v13, s10, v9
	v_or_b32_e32 v15, 0x1000, v7
	v_add_u32_e32 v12, 0xfffffc10, v12
	v_med3_i32 v13, v16, 0, 13
	v_cmp_ne_u32_e32 vcc, 0, v7
	v_or_b32_e32 v17, 0x1000, v9
	v_lshrrev_b32_e32 v19, v11, v15
	v_add_u32_e32 v14, 0xfffffc10, v14
	v_lshl_or_b32 v16, v12, 12, v7
	v_cndmask_b32_e64 v7, 0, 1, vcc
	v_cmp_ne_u32_e32 vcc, 0, v9
	v_lshrrev_b32_e32 v20, v13, v17
	v_lshlrev_b32_e32 v11, v11, v19
	v_lshl_or_b32 v18, v14, 12, v9
	v_cndmask_b32_e64 v9, 0, 1, vcc
	v_lshlrev_b32_e32 v13, v13, v20
	v_cmp_ne_u32_e32 vcc, v11, v15
	v_cndmask_b32_e64 v11, 0, 1, vcc
	v_cmp_ne_u32_e32 vcc, v13, v17
	v_cndmask_b32_e64 v13, 0, 1, vcc
	v_or_b32_e32 v11, v19, v11
	v_cmp_gt_i32_e32 vcc, 1, v12
	v_cndmask_b32_e32 v11, v16, v11, vcc
	v_or_b32_e32 v13, v20, v13
	v_cmp_gt_i32_e32 vcc, 1, v14
	v_and_b32_e32 v15, 7, v11
	v_cndmask_b32_e32 v13, v18, v13, vcc
	v_cmp_lt_i32_e32 vcc, 5, v15
	v_cmp_eq_u32_e64 s[0:1], 3, v15
	v_lshrrev_b32_e32 v11, 2, v11
	v_and_b32_e32 v16, 7, v13
	s_or_b64 vcc, s[0:1], vcc
	v_cmp_lt_i32_e64 s[2:3], 5, v16
	v_cmp_eq_u32_e64 s[4:5], 3, v16
	v_addc_co_u32_e32 v11, vcc, 0, v11, vcc
	v_lshrrev_b32_e32 v13, 2, v13
	s_or_b64 vcc, s[4:5], s[2:3]
	v_addc_co_u32_e32 v13, vcc, 0, v13, vcc
	v_cmp_gt_i32_e32 vcc, 31, v12
	v_cndmask_b32_e32 v11, v2, v11, vcc
	v_cmp_gt_i32_e32 vcc, 31, v14
	v_lshl_or_b32 v7, v7, 9, v2
	v_cndmask_b32_e32 v13, v2, v13, vcc
	v_cmp_eq_u32_e32 vcc, s11, v12
	v_lshrrev_b32_e32 v8, 16, v8
	v_lshl_or_b32 v9, v9, 9, v2
	v_cndmask_b32_e32 v7, v11, v7, vcc
	v_cmp_eq_u32_e32 vcc, s11, v14
	v_lshrrev_b32_e32 v10, 16, v10
	v_cndmask_b32_e32 v9, v13, v9, vcc
	v_and_or_b32 v7, v8, s14, v7
	v_and_or_b32 v8, v10, s14, v9
	v_and_b32_e32 v7, 0xffff, v7
	v_lshl_or_b32 v7, v8, 16, v7
	global_store_dword v[0:1], v7, off
	global_load_dword v8, v[56:57], off offset:2760
	ds_read2_b32 v[6:7], v6 offset0:50 offset1:175
	v_add_co_u32_e32 v0, vcc, s6, v0
	v_addc_co_u32_e32 v1, vcc, v1, v3, vcc
	s_waitcnt lgkmcnt(0)
	v_lshrrev_b32_e32 v9, 16, v6
	s_waitcnt vmcnt(0)
	v_mul_f16_sdwa v10, v9, v8 dst_sel:DWORD dst_unused:UNUSED_PAD src0_sel:DWORD src1_sel:WORD_1
	v_fma_f16 v10, v6, v8, v10
	v_mul_f16_sdwa v6, v6, v8 dst_sel:DWORD dst_unused:UNUSED_PAD src0_sel:DWORD src1_sel:WORD_1
	v_cvt_f32_f16_e32 v10, v10
	v_fma_f16 v6, v8, v9, -v6
	v_cvt_f32_f16_e32 v6, v6
	v_cvt_f64_f32_e32 v[8:9], v10
	v_cvt_f64_f32_e32 v[10:11], v6
	v_mul_f64 v[8:9], v[8:9], s[12:13]
	v_mul_f64 v[10:11], v[10:11], s[12:13]
	v_and_or_b32 v6, v9, s15, v8
	v_cmp_ne_u32_e32 vcc, 0, v6
	v_and_or_b32 v10, v11, s15, v10
	v_lshrrev_b32_e32 v8, 8, v9
	v_bfe_u32 v12, v9, 20, 11
	v_cndmask_b32_e64 v6, 0, 1, vcc
	v_cmp_ne_u32_e32 vcc, 0, v10
	v_lshrrev_b32_e32 v13, 8, v11
	v_bfe_u32 v14, v11, 20, 11
	v_sub_u32_e32 v15, 0x3f1, v12
	v_cndmask_b32_e64 v10, 0, 1, vcc
	v_and_or_b32 v6, v8, s10, v6
	v_sub_u32_e32 v16, 0x3f1, v14
	v_med3_i32 v8, v15, 0, 13
	v_and_or_b32 v10, v13, s10, v10
	v_or_b32_e32 v15, 0x1000, v6
	v_add_u32_e32 v12, 0xfffffc10, v12
	v_med3_i32 v13, v16, 0, 13
	v_cmp_ne_u32_e32 vcc, 0, v6
	v_or_b32_e32 v17, 0x1000, v10
	v_lshrrev_b32_e32 v19, v8, v15
	v_add_u32_e32 v14, 0xfffffc10, v14
	v_lshl_or_b32 v16, v12, 12, v6
	v_cndmask_b32_e64 v6, 0, 1, vcc
	v_cmp_ne_u32_e32 vcc, 0, v10
	v_lshrrev_b32_e32 v20, v13, v17
	v_lshlrev_b32_e32 v8, v8, v19
	v_lshl_or_b32 v18, v14, 12, v10
	v_cndmask_b32_e64 v10, 0, 1, vcc
	v_lshlrev_b32_e32 v13, v13, v20
	v_cmp_ne_u32_e32 vcc, v8, v15
	v_cndmask_b32_e64 v8, 0, 1, vcc
	v_cmp_ne_u32_e32 vcc, v13, v17
	v_cndmask_b32_e64 v13, 0, 1, vcc
	v_or_b32_e32 v8, v19, v8
	v_cmp_gt_i32_e32 vcc, 1, v12
	v_cndmask_b32_e32 v8, v16, v8, vcc
	v_or_b32_e32 v13, v20, v13
	v_cmp_gt_i32_e32 vcc, 1, v14
	v_and_b32_e32 v15, 7, v8
	v_cndmask_b32_e32 v13, v18, v13, vcc
	v_cmp_lt_i32_e32 vcc, 5, v15
	v_cmp_eq_u32_e64 s[0:1], 3, v15
	v_lshrrev_b32_e32 v8, 2, v8
	v_and_b32_e32 v16, 7, v13
	s_or_b64 vcc, s[0:1], vcc
	v_cmp_lt_i32_e64 s[2:3], 5, v16
	v_cmp_eq_u32_e64 s[4:5], 3, v16
	v_addc_co_u32_e32 v8, vcc, 0, v8, vcc
	v_lshrrev_b32_e32 v13, 2, v13
	s_or_b64 vcc, s[4:5], s[2:3]
	v_addc_co_u32_e32 v13, vcc, 0, v13, vcc
	v_cmp_gt_i32_e32 vcc, 31, v12
	v_cndmask_b32_e32 v8, v2, v8, vcc
	v_cmp_gt_i32_e32 vcc, 31, v14
	v_lshl_or_b32 v6, v6, 9, v2
	v_cndmask_b32_e32 v13, v2, v13, vcc
	v_cmp_eq_u32_e32 vcc, s11, v12
	v_lshrrev_b32_e32 v9, 16, v9
	v_lshl_or_b32 v10, v10, 9, v2
	v_cndmask_b32_e32 v6, v8, v6, vcc
	v_cmp_eq_u32_e32 vcc, s11, v14
	v_lshrrev_b32_e32 v11, 16, v11
	v_cndmask_b32_e32 v8, v13, v10, vcc
	v_and_or_b32 v6, v9, s14, v6
	v_and_or_b32 v8, v11, s14, v8
	v_and_b32_e32 v6, 0xffff, v6
	v_lshl_or_b32 v6, v8, 16, v6
	global_store_dword v[0:1], v6, off
	global_load_dword v6, v[56:57], off offset:3260
	v_lshrrev_b32_e32 v8, 16, v7
	v_add_co_u32_e32 v10, vcc, s6, v0
	v_addc_co_u32_e32 v11, vcc, v1, v3, vcc
	s_waitcnt vmcnt(0)
	v_mul_f16_sdwa v9, v8, v6 dst_sel:DWORD dst_unused:UNUSED_PAD src0_sel:DWORD src1_sel:WORD_1
	v_fma_f16 v9, v7, v6, v9
	v_mul_f16_sdwa v7, v7, v6 dst_sel:DWORD dst_unused:UNUSED_PAD src0_sel:DWORD src1_sel:WORD_1
	v_cvt_f32_f16_e32 v9, v9
	v_fma_f16 v6, v6, v8, -v7
	v_cvt_f32_f16_e32 v8, v6
	v_cvt_f64_f32_e32 v[6:7], v9
	v_cvt_f64_f32_e32 v[8:9], v8
	v_mul_f64 v[6:7], v[6:7], s[12:13]
	v_mul_f64 v[8:9], v[8:9], s[12:13]
	v_and_or_b32 v0, v7, s15, v6
	v_cmp_ne_u32_e32 vcc, 0, v0
	v_and_or_b32 v8, v9, s15, v8
	v_lshrrev_b32_e32 v1, 8, v7
	v_bfe_u32 v6, v7, 20, 11
	v_cndmask_b32_e64 v0, 0, 1, vcc
	v_cmp_ne_u32_e32 vcc, 0, v8
	v_lshrrev_b32_e32 v12, 8, v9
	v_bfe_u32 v13, v9, 20, 11
	v_sub_u32_e32 v14, 0x3f1, v6
	v_cndmask_b32_e64 v8, 0, 1, vcc
	v_and_or_b32 v0, v1, s10, v0
	v_sub_u32_e32 v15, 0x3f1, v13
	v_med3_i32 v1, v14, 0, 13
	v_and_or_b32 v8, v12, s10, v8
	v_or_b32_e32 v14, 0x1000, v0
	v_add_u32_e32 v6, 0xfffffc10, v6
	v_med3_i32 v12, v15, 0, 13
	v_cmp_ne_u32_e32 vcc, 0, v0
	v_or_b32_e32 v16, 0x1000, v8
	v_lshrrev_b32_e32 v18, v1, v14
	v_add_u32_e32 v13, 0xfffffc10, v13
	v_lshl_or_b32 v15, v6, 12, v0
	v_cndmask_b32_e64 v0, 0, 1, vcc
	v_cmp_ne_u32_e32 vcc, 0, v8
	v_lshrrev_b32_e32 v19, v12, v16
	v_lshlrev_b32_e32 v1, v1, v18
	v_lshl_or_b32 v17, v13, 12, v8
	v_cndmask_b32_e64 v8, 0, 1, vcc
	v_lshlrev_b32_e32 v12, v12, v19
	v_cmp_ne_u32_e32 vcc, v1, v14
	v_cndmask_b32_e64 v1, 0, 1, vcc
	v_cmp_ne_u32_e32 vcc, v12, v16
	v_cndmask_b32_e64 v12, 0, 1, vcc
	v_or_b32_e32 v1, v18, v1
	v_cmp_gt_i32_e32 vcc, 1, v6
	v_cndmask_b32_e32 v1, v15, v1, vcc
	v_or_b32_e32 v12, v19, v12
	v_cmp_gt_i32_e32 vcc, 1, v13
	v_and_b32_e32 v14, 7, v1
	v_cndmask_b32_e32 v12, v17, v12, vcc
	v_cmp_lt_i32_e32 vcc, 5, v14
	v_cmp_eq_u32_e64 s[0:1], 3, v14
	v_lshrrev_b32_e32 v1, 2, v1
	v_and_b32_e32 v15, 7, v12
	s_or_b64 vcc, s[0:1], vcc
	v_cmp_lt_i32_e64 s[2:3], 5, v15
	v_cmp_eq_u32_e64 s[4:5], 3, v15
	v_addc_co_u32_e32 v1, vcc, 0, v1, vcc
	v_lshrrev_b32_e32 v12, 2, v12
	s_or_b64 vcc, s[4:5], s[2:3]
	v_addc_co_u32_e32 v12, vcc, 0, v12, vcc
	v_cmp_gt_i32_e32 vcc, 31, v6
	v_cndmask_b32_e32 v1, v2, v1, vcc
	v_cmp_gt_i32_e32 vcc, 31, v13
	v_lshl_or_b32 v0, v0, 9, v2
	v_cndmask_b32_e32 v12, v2, v12, vcc
	v_cmp_eq_u32_e32 vcc, s11, v6
	v_lshrrev_b32_e32 v7, 16, v7
	v_lshl_or_b32 v8, v8, 9, v2
	v_cndmask_b32_e32 v0, v1, v0, vcc
	v_cmp_eq_u32_e32 vcc, s11, v13
	v_lshrrev_b32_e32 v9, 16, v9
	v_cndmask_b32_e32 v1, v12, v8, vcc
	v_and_or_b32 v0, v7, s14, v0
	v_and_or_b32 v1, v9, s14, v1
	v_and_b32_e32 v0, 0xffff, v0
	v_lshl_or_b32 v0, v1, 16, v0
	global_store_dword v[10:11], v0, off
	global_load_dword v0, v[56:57], off offset:3760
	ds_read2_b32 v[5:6], v5 offset0:44 offset1:169
	s_waitcnt lgkmcnt(0)
	v_lshrrev_b32_e32 v1, 16, v5
	s_waitcnt vmcnt(0)
	v_mul_f16_sdwa v7, v1, v0 dst_sel:DWORD dst_unused:UNUSED_PAD src0_sel:DWORD src1_sel:WORD_1
	v_fma_f16 v7, v5, v0, v7
	v_mul_f16_sdwa v5, v5, v0 dst_sel:DWORD dst_unused:UNUSED_PAD src0_sel:DWORD src1_sel:WORD_1
	v_cvt_f32_f16_e32 v7, v7
	v_fma_f16 v0, v0, v1, -v5
	v_cvt_f32_f16_e32 v5, v0
	v_cvt_f64_f32_e32 v[0:1], v7
	v_cvt_f64_f32_e32 v[7:8], v5
	v_mul_f64 v[12:13], v[0:1], s[12:13]
	v_add_co_u32_e32 v0, vcc, s16, v56
	v_mul_f64 v[7:8], v[7:8], s[12:13]
	v_addc_co_u32_e32 v1, vcc, 0, v57, vcc
	v_add_co_u32_e32 v9, vcc, s6, v10
	v_addc_co_u32_e32 v10, vcc, v11, v3, vcc
	v_and_or_b32 v5, v13, s15, v12
	v_and_or_b32 v7, v8, s15, v7
	v_cmp_ne_u32_e32 vcc, 0, v5
	v_lshrrev_b32_e32 v11, 8, v13
	v_bfe_u32 v12, v13, 20, 11
	v_cndmask_b32_e64 v5, 0, 1, vcc
	v_cmp_ne_u32_e32 vcc, 0, v7
	v_lshrrev_b32_e32 v14, 8, v8
	v_bfe_u32 v15, v8, 20, 11
	v_sub_u32_e32 v16, 0x3f1, v12
	v_cndmask_b32_e64 v7, 0, 1, vcc
	v_and_or_b32 v5, v11, s10, v5
	v_sub_u32_e32 v17, 0x3f1, v15
	v_med3_i32 v11, v16, 0, 13
	v_and_or_b32 v7, v14, s10, v7
	v_or_b32_e32 v16, 0x1000, v5
	v_add_u32_e32 v12, 0xfffffc10, v12
	v_med3_i32 v14, v17, 0, 13
	v_cmp_ne_u32_e32 vcc, 0, v5
	v_or_b32_e32 v18, 0x1000, v7
	v_lshrrev_b32_e32 v20, v11, v16
	v_add_u32_e32 v15, 0xfffffc10, v15
	v_lshl_or_b32 v17, v12, 12, v5
	v_cndmask_b32_e64 v5, 0, 1, vcc
	v_cmp_ne_u32_e32 vcc, 0, v7
	v_lshrrev_b32_e32 v21, v14, v18
	v_lshlrev_b32_e32 v11, v11, v20
	v_lshl_or_b32 v19, v15, 12, v7
	v_cndmask_b32_e64 v7, 0, 1, vcc
	v_lshlrev_b32_e32 v14, v14, v21
	v_cmp_ne_u32_e32 vcc, v11, v16
	v_cndmask_b32_e64 v11, 0, 1, vcc
	v_cmp_ne_u32_e32 vcc, v14, v18
	v_cndmask_b32_e64 v14, 0, 1, vcc
	v_or_b32_e32 v11, v20, v11
	v_cmp_gt_i32_e32 vcc, 1, v12
	v_cndmask_b32_e32 v11, v17, v11, vcc
	v_or_b32_e32 v14, v21, v14
	v_cmp_gt_i32_e32 vcc, 1, v15
	v_and_b32_e32 v16, 7, v11
	v_cndmask_b32_e32 v14, v19, v14, vcc
	v_cmp_lt_i32_e32 vcc, 5, v16
	v_cmp_eq_u32_e64 s[0:1], 3, v16
	v_lshrrev_b32_e32 v11, 2, v11
	v_and_b32_e32 v17, 7, v14
	s_or_b64 vcc, s[0:1], vcc
	v_cmp_lt_i32_e64 s[2:3], 5, v17
	v_cmp_eq_u32_e64 s[4:5], 3, v17
	v_addc_co_u32_e32 v11, vcc, 0, v11, vcc
	v_lshrrev_b32_e32 v14, 2, v14
	s_or_b64 vcc, s[4:5], s[2:3]
	v_addc_co_u32_e32 v14, vcc, 0, v14, vcc
	v_cmp_gt_i32_e32 vcc, 31, v12
	v_cndmask_b32_e32 v11, v2, v11, vcc
	v_cmp_gt_i32_e32 vcc, 31, v15
	v_lshl_or_b32 v5, v5, 9, v2
	v_cndmask_b32_e32 v14, v2, v14, vcc
	v_cmp_eq_u32_e32 vcc, s11, v12
	v_lshrrev_b32_e32 v13, 16, v13
	v_lshl_or_b32 v7, v7, 9, v2
	v_cndmask_b32_e32 v5, v11, v5, vcc
	v_cmp_eq_u32_e32 vcc, s11, v15
	v_lshrrev_b32_e32 v8, 16, v8
	v_cndmask_b32_e32 v7, v14, v7, vcc
	v_and_or_b32 v5, v13, s14, v5
	v_and_or_b32 v7, v8, s14, v7
	v_and_b32_e32 v5, 0xffff, v5
	v_lshl_or_b32 v5, v7, 16, v5
	global_store_dword v[9:10], v5, off
	global_load_dword v5, v[0:1], off offset:164
	v_lshrrev_b32_e32 v7, 16, v6
	v_add_co_u32_e32 v9, vcc, s6, v9
	v_addc_co_u32_e32 v10, vcc, v10, v3, vcc
	s_waitcnt vmcnt(0)
	v_mul_f16_sdwa v8, v7, v5 dst_sel:DWORD dst_unused:UNUSED_PAD src0_sel:DWORD src1_sel:WORD_1
	v_fma_f16 v8, v6, v5, v8
	v_mul_f16_sdwa v6, v6, v5 dst_sel:DWORD dst_unused:UNUSED_PAD src0_sel:DWORD src1_sel:WORD_1
	v_cvt_f32_f16_e32 v8, v8
	v_fma_f16 v5, v5, v7, -v6
	v_cvt_f32_f16_e32 v7, v5
	v_cvt_f64_f32_e32 v[5:6], v8
	v_cvt_f64_f32_e32 v[7:8], v7
	v_mul_f64 v[5:6], v[5:6], s[12:13]
	v_mul_f64 v[7:8], v[7:8], s[12:13]
	v_and_or_b32 v5, v6, s15, v5
	v_cmp_ne_u32_e32 vcc, 0, v5
	v_and_or_b32 v7, v8, s15, v7
	v_lshrrev_b32_e32 v11, 8, v6
	v_bfe_u32 v12, v6, 20, 11
	v_cndmask_b32_e64 v5, 0, 1, vcc
	v_cmp_ne_u32_e32 vcc, 0, v7
	v_lshrrev_b32_e32 v13, 8, v8
	v_bfe_u32 v14, v8, 20, 11
	v_sub_u32_e32 v15, 0x3f1, v12
	v_cndmask_b32_e64 v7, 0, 1, vcc
	v_and_or_b32 v5, v11, s10, v5
	v_sub_u32_e32 v16, 0x3f1, v14
	v_med3_i32 v11, v15, 0, 13
	v_and_or_b32 v7, v13, s10, v7
	v_or_b32_e32 v15, 0x1000, v5
	v_add_u32_e32 v12, 0xfffffc10, v12
	v_med3_i32 v13, v16, 0, 13
	v_cmp_ne_u32_e32 vcc, 0, v5
	v_or_b32_e32 v17, 0x1000, v7
	v_lshrrev_b32_e32 v19, v11, v15
	v_add_u32_e32 v14, 0xfffffc10, v14
	v_lshl_or_b32 v16, v12, 12, v5
	v_cndmask_b32_e64 v5, 0, 1, vcc
	v_cmp_ne_u32_e32 vcc, 0, v7
	v_lshrrev_b32_e32 v20, v13, v17
	v_lshlrev_b32_e32 v11, v11, v19
	v_lshl_or_b32 v18, v14, 12, v7
	v_cndmask_b32_e64 v7, 0, 1, vcc
	v_lshlrev_b32_e32 v13, v13, v20
	v_cmp_ne_u32_e32 vcc, v11, v15
	v_cndmask_b32_e64 v11, 0, 1, vcc
	v_cmp_ne_u32_e32 vcc, v13, v17
	v_cndmask_b32_e64 v13, 0, 1, vcc
	v_or_b32_e32 v11, v19, v11
	v_cmp_gt_i32_e32 vcc, 1, v12
	v_cndmask_b32_e32 v11, v16, v11, vcc
	v_or_b32_e32 v13, v20, v13
	v_cmp_gt_i32_e32 vcc, 1, v14
	v_and_b32_e32 v15, 7, v11
	v_cndmask_b32_e32 v13, v18, v13, vcc
	v_cmp_lt_i32_e32 vcc, 5, v15
	v_cmp_eq_u32_e64 s[0:1], 3, v15
	v_lshrrev_b32_e32 v11, 2, v11
	v_and_b32_e32 v16, 7, v13
	s_or_b64 vcc, s[0:1], vcc
	v_cmp_lt_i32_e64 s[2:3], 5, v16
	v_cmp_eq_u32_e64 s[4:5], 3, v16
	v_addc_co_u32_e32 v11, vcc, 0, v11, vcc
	v_lshrrev_b32_e32 v13, 2, v13
	s_or_b64 vcc, s[4:5], s[2:3]
	v_addc_co_u32_e32 v13, vcc, 0, v13, vcc
	v_cmp_gt_i32_e32 vcc, 31, v12
	v_cndmask_b32_e32 v11, v2, v11, vcc
	v_cmp_gt_i32_e32 vcc, 31, v14
	v_lshl_or_b32 v5, v5, 9, v2
	v_cndmask_b32_e32 v13, v2, v13, vcc
	v_cmp_eq_u32_e32 vcc, s11, v12
	v_lshrrev_b32_e32 v6, 16, v6
	v_lshl_or_b32 v7, v7, 9, v2
	v_cndmask_b32_e32 v5, v11, v5, vcc
	v_cmp_eq_u32_e32 vcc, s11, v14
	v_lshrrev_b32_e32 v8, 16, v8
	v_cndmask_b32_e32 v7, v13, v7, vcc
	v_and_or_b32 v5, v6, s14, v5
	v_and_or_b32 v6, v8, s14, v7
	v_and_b32_e32 v5, 0xffff, v5
	v_lshl_or_b32 v5, v6, 16, v5
	global_store_dword v[9:10], v5, off
	global_load_dword v6, v[0:1], off offset:664
	ds_read2_b32 v[4:5], v4 offset0:38 offset1:163
	s_waitcnt lgkmcnt(0)
	v_lshrrev_b32_e32 v7, 16, v4
	s_waitcnt vmcnt(0)
	v_mul_f16_sdwa v8, v7, v6 dst_sel:DWORD dst_unused:UNUSED_PAD src0_sel:DWORD src1_sel:WORD_1
	v_fma_f16 v8, v4, v6, v8
	v_mul_f16_sdwa v4, v4, v6 dst_sel:DWORD dst_unused:UNUSED_PAD src0_sel:DWORD src1_sel:WORD_1
	v_cvt_f32_f16_e32 v8, v8
	v_fma_f16 v4, v6, v7, -v4
	v_cvt_f32_f16_e32 v4, v4
	v_cvt_f64_f32_e32 v[6:7], v8
	v_add_co_u32_e32 v8, vcc, s6, v9
	v_cvt_f64_f32_e32 v[11:12], v4
	v_mul_f64 v[6:7], v[6:7], s[12:13]
	v_addc_co_u32_e32 v9, vcc, v10, v3, vcc
	v_mul_f64 v[11:12], v[11:12], s[12:13]
	v_and_or_b32 v4, v7, s15, v6
	v_cmp_ne_u32_e32 vcc, 0, v4
	v_lshrrev_b32_e32 v6, 8, v7
	v_and_or_b32 v11, v12, s15, v11
	v_bfe_u32 v10, v7, 20, 11
	v_cndmask_b32_e64 v4, 0, 1, vcc
	v_cmp_ne_u32_e32 vcc, 0, v11
	v_lshrrev_b32_e32 v13, 8, v12
	v_bfe_u32 v14, v12, 20, 11
	v_sub_u32_e32 v15, 0x3f1, v10
	v_cndmask_b32_e64 v11, 0, 1, vcc
	v_and_or_b32 v4, v6, s10, v4
	v_sub_u32_e32 v16, 0x3f1, v14
	v_med3_i32 v6, v15, 0, 13
	v_and_or_b32 v11, v13, s10, v11
	v_or_b32_e32 v15, 0x1000, v4
	v_add_u32_e32 v10, 0xfffffc10, v10
	v_med3_i32 v13, v16, 0, 13
	v_cmp_ne_u32_e32 vcc, 0, v4
	v_or_b32_e32 v17, 0x1000, v11
	v_lshrrev_b32_e32 v19, v6, v15
	v_add_u32_e32 v14, 0xfffffc10, v14
	v_lshl_or_b32 v16, v10, 12, v4
	v_cndmask_b32_e64 v4, 0, 1, vcc
	v_cmp_ne_u32_e32 vcc, 0, v11
	v_lshrrev_b32_e32 v20, v13, v17
	v_lshlrev_b32_e32 v6, v6, v19
	v_lshl_or_b32 v18, v14, 12, v11
	v_cndmask_b32_e64 v11, 0, 1, vcc
	v_lshlrev_b32_e32 v13, v13, v20
	v_cmp_ne_u32_e32 vcc, v6, v15
	v_cndmask_b32_e64 v6, 0, 1, vcc
	v_cmp_ne_u32_e32 vcc, v13, v17
	v_cndmask_b32_e64 v13, 0, 1, vcc
	v_or_b32_e32 v6, v19, v6
	v_cmp_gt_i32_e32 vcc, 1, v10
	v_cndmask_b32_e32 v6, v16, v6, vcc
	v_or_b32_e32 v13, v20, v13
	v_cmp_gt_i32_e32 vcc, 1, v14
	v_and_b32_e32 v15, 7, v6
	v_cndmask_b32_e32 v13, v18, v13, vcc
	v_cmp_lt_i32_e32 vcc, 5, v15
	v_cmp_eq_u32_e64 s[0:1], 3, v15
	v_lshrrev_b32_e32 v6, 2, v6
	v_and_b32_e32 v16, 7, v13
	s_or_b64 vcc, s[0:1], vcc
	v_cmp_lt_i32_e64 s[2:3], 5, v16
	v_cmp_eq_u32_e64 s[4:5], 3, v16
	v_addc_co_u32_e32 v6, vcc, 0, v6, vcc
	v_lshrrev_b32_e32 v13, 2, v13
	s_or_b64 vcc, s[4:5], s[2:3]
	v_addc_co_u32_e32 v13, vcc, 0, v13, vcc
	v_cmp_gt_i32_e32 vcc, 31, v10
	v_cndmask_b32_e32 v6, v2, v6, vcc
	v_cmp_gt_i32_e32 vcc, 31, v14
	v_lshl_or_b32 v4, v4, 9, v2
	v_cndmask_b32_e32 v13, v2, v13, vcc
	v_cmp_eq_u32_e32 vcc, s11, v10
	v_lshrrev_b32_e32 v7, 16, v7
	v_lshl_or_b32 v11, v11, 9, v2
	v_cndmask_b32_e32 v4, v6, v4, vcc
	v_cmp_eq_u32_e32 vcc, s11, v14
	v_lshrrev_b32_e32 v12, 16, v12
	v_cndmask_b32_e32 v6, v13, v11, vcc
	v_and_or_b32 v4, v7, s14, v4
	v_and_or_b32 v6, v12, s14, v6
	v_and_b32_e32 v4, 0xffff, v4
	v_lshl_or_b32 v4, v6, 16, v4
	global_store_dword v[8:9], v4, off
	global_load_dword v4, v[0:1], off offset:1164
	v_lshrrev_b32_e32 v6, 16, v5
	v_add_co_u32_e32 v8, vcc, s6, v8
	v_addc_co_u32_e32 v9, vcc, v9, v3, vcc
	s_waitcnt vmcnt(0)
	v_mul_f16_sdwa v7, v6, v4 dst_sel:DWORD dst_unused:UNUSED_PAD src0_sel:DWORD src1_sel:WORD_1
	v_fma_f16 v7, v5, v4, v7
	v_mul_f16_sdwa v5, v5, v4 dst_sel:DWORD dst_unused:UNUSED_PAD src0_sel:DWORD src1_sel:WORD_1
	v_cvt_f32_f16_e32 v7, v7
	v_fma_f16 v4, v4, v6, -v5
	v_cvt_f32_f16_e32 v6, v4
	v_cvt_f64_f32_e32 v[4:5], v7
	v_cvt_f64_f32_e32 v[6:7], v6
	v_mul_f64 v[4:5], v[4:5], s[12:13]
	v_mul_f64 v[6:7], v[6:7], s[12:13]
	v_and_or_b32 v4, v5, s15, v4
	v_cmp_ne_u32_e32 vcc, 0, v4
	v_and_or_b32 v6, v7, s15, v6
	v_lshrrev_b32_e32 v10, 8, v5
	v_bfe_u32 v11, v5, 20, 11
	v_cndmask_b32_e64 v4, 0, 1, vcc
	v_cmp_ne_u32_e32 vcc, 0, v6
	v_lshrrev_b32_e32 v12, 8, v7
	v_bfe_u32 v13, v7, 20, 11
	v_sub_u32_e32 v14, 0x3f1, v11
	v_cndmask_b32_e64 v6, 0, 1, vcc
	v_and_or_b32 v4, v10, s10, v4
	v_sub_u32_e32 v15, 0x3f1, v13
	v_med3_i32 v10, v14, 0, 13
	v_and_or_b32 v6, v12, s10, v6
	v_or_b32_e32 v14, 0x1000, v4
	v_add_u32_e32 v11, 0xfffffc10, v11
	v_med3_i32 v12, v15, 0, 13
	v_cmp_ne_u32_e32 vcc, 0, v4
	v_or_b32_e32 v16, 0x1000, v6
	v_lshrrev_b32_e32 v18, v10, v14
	v_add_u32_e32 v13, 0xfffffc10, v13
	v_lshl_or_b32 v15, v11, 12, v4
	v_cndmask_b32_e64 v4, 0, 1, vcc
	v_cmp_ne_u32_e32 vcc, 0, v6
	v_lshrrev_b32_e32 v19, v12, v16
	v_lshlrev_b32_e32 v10, v10, v18
	v_lshl_or_b32 v17, v13, 12, v6
	v_cndmask_b32_e64 v6, 0, 1, vcc
	v_lshlrev_b32_e32 v12, v12, v19
	v_cmp_ne_u32_e32 vcc, v10, v14
	v_cndmask_b32_e64 v10, 0, 1, vcc
	v_cmp_ne_u32_e32 vcc, v12, v16
	v_cndmask_b32_e64 v12, 0, 1, vcc
	v_or_b32_e32 v10, v18, v10
	v_cmp_gt_i32_e32 vcc, 1, v11
	v_cndmask_b32_e32 v10, v15, v10, vcc
	v_or_b32_e32 v12, v19, v12
	v_cmp_gt_i32_e32 vcc, 1, v13
	v_and_b32_e32 v14, 7, v10
	v_cndmask_b32_e32 v12, v17, v12, vcc
	v_cmp_lt_i32_e32 vcc, 5, v14
	v_cmp_eq_u32_e64 s[0:1], 3, v14
	v_lshrrev_b32_e32 v10, 2, v10
	v_and_b32_e32 v15, 7, v12
	s_or_b64 vcc, s[0:1], vcc
	v_cmp_lt_i32_e64 s[2:3], 5, v15
	v_cmp_eq_u32_e64 s[4:5], 3, v15
	v_addc_co_u32_e32 v10, vcc, 0, v10, vcc
	v_lshrrev_b32_e32 v12, 2, v12
	s_or_b64 vcc, s[4:5], s[2:3]
	v_addc_co_u32_e32 v12, vcc, 0, v12, vcc
	v_cmp_gt_i32_e32 vcc, 31, v11
	v_cndmask_b32_e32 v10, v2, v10, vcc
	v_cmp_gt_i32_e32 vcc, 31, v13
	v_lshl_or_b32 v4, v4, 9, v2
	v_cndmask_b32_e32 v12, v2, v12, vcc
	v_cmp_eq_u32_e32 vcc, s11, v11
	v_lshrrev_b32_e32 v5, 16, v5
	v_lshl_or_b32 v6, v6, 9, v2
	v_cndmask_b32_e32 v4, v10, v4, vcc
	v_cmp_eq_u32_e32 vcc, s11, v13
	v_lshrrev_b32_e32 v7, 16, v7
	v_cndmask_b32_e32 v6, v12, v6, vcc
	v_and_or_b32 v4, v5, s14, v4
	v_and_or_b32 v5, v7, s14, v6
	v_and_b32_e32 v4, 0xffff, v4
	v_lshl_or_b32 v4, v5, 16, v4
	global_store_dword v[8:9], v4, off
	global_load_dword v6, v[0:1], off offset:1664
	v_add_u32_e32 v4, 0x1600, v83
	ds_read2_b32 v[4:5], v4 offset0:32 offset1:157
	v_add_co_u32_e32 v8, vcc, s6, v8
	v_addc_co_u32_e32 v9, vcc, v9, v3, vcc
	s_waitcnt lgkmcnt(0)
	v_lshrrev_b32_e32 v7, 16, v4
	s_waitcnt vmcnt(0)
	v_mul_f16_sdwa v10, v7, v6 dst_sel:DWORD dst_unused:UNUSED_PAD src0_sel:DWORD src1_sel:WORD_1
	v_fma_f16 v10, v4, v6, v10
	v_mul_f16_sdwa v4, v4, v6 dst_sel:DWORD dst_unused:UNUSED_PAD src0_sel:DWORD src1_sel:WORD_1
	v_cvt_f32_f16_e32 v10, v10
	v_fma_f16 v4, v6, v7, -v4
	v_cvt_f32_f16_e32 v4, v4
	v_cvt_f64_f32_e32 v[6:7], v10
	v_cvt_f64_f32_e32 v[10:11], v4
	v_mul_f64 v[6:7], v[6:7], s[12:13]
	v_mul_f64 v[10:11], v[10:11], s[12:13]
	v_and_or_b32 v4, v7, s15, v6
	v_cmp_ne_u32_e32 vcc, 0, v4
	v_and_or_b32 v10, v11, s15, v10
	v_lshrrev_b32_e32 v6, 8, v7
	v_bfe_u32 v12, v7, 20, 11
	v_cndmask_b32_e64 v4, 0, 1, vcc
	v_cmp_ne_u32_e32 vcc, 0, v10
	v_lshrrev_b32_e32 v13, 8, v11
	v_bfe_u32 v14, v11, 20, 11
	v_sub_u32_e32 v15, 0x3f1, v12
	v_cndmask_b32_e64 v10, 0, 1, vcc
	v_and_or_b32 v4, v6, s10, v4
	v_sub_u32_e32 v16, 0x3f1, v14
	v_med3_i32 v6, v15, 0, 13
	v_and_or_b32 v10, v13, s10, v10
	v_or_b32_e32 v15, 0x1000, v4
	v_add_u32_e32 v12, 0xfffffc10, v12
	v_med3_i32 v13, v16, 0, 13
	v_cmp_ne_u32_e32 vcc, 0, v4
	v_or_b32_e32 v17, 0x1000, v10
	v_lshrrev_b32_e32 v19, v6, v15
	v_add_u32_e32 v14, 0xfffffc10, v14
	v_lshl_or_b32 v16, v12, 12, v4
	v_cndmask_b32_e64 v4, 0, 1, vcc
	v_cmp_ne_u32_e32 vcc, 0, v10
	v_lshrrev_b32_e32 v20, v13, v17
	v_lshlrev_b32_e32 v6, v6, v19
	v_lshl_or_b32 v18, v14, 12, v10
	v_cndmask_b32_e64 v10, 0, 1, vcc
	v_lshlrev_b32_e32 v13, v13, v20
	v_cmp_ne_u32_e32 vcc, v6, v15
	v_cndmask_b32_e64 v6, 0, 1, vcc
	v_cmp_ne_u32_e32 vcc, v13, v17
	v_cndmask_b32_e64 v13, 0, 1, vcc
	v_or_b32_e32 v6, v19, v6
	v_cmp_gt_i32_e32 vcc, 1, v12
	v_cndmask_b32_e32 v6, v16, v6, vcc
	v_or_b32_e32 v13, v20, v13
	v_cmp_gt_i32_e32 vcc, 1, v14
	v_and_b32_e32 v15, 7, v6
	v_cndmask_b32_e32 v13, v18, v13, vcc
	v_cmp_lt_i32_e32 vcc, 5, v15
	v_cmp_eq_u32_e64 s[0:1], 3, v15
	v_lshrrev_b32_e32 v6, 2, v6
	v_and_b32_e32 v16, 7, v13
	s_or_b64 vcc, s[0:1], vcc
	v_cmp_lt_i32_e64 s[2:3], 5, v16
	v_cmp_eq_u32_e64 s[4:5], 3, v16
	v_addc_co_u32_e32 v6, vcc, 0, v6, vcc
	v_lshrrev_b32_e32 v13, 2, v13
	s_or_b64 vcc, s[4:5], s[2:3]
	v_addc_co_u32_e32 v13, vcc, 0, v13, vcc
	v_cmp_gt_i32_e32 vcc, 31, v12
	v_cndmask_b32_e32 v6, v2, v6, vcc
	v_cmp_gt_i32_e32 vcc, 31, v14
	v_lshl_or_b32 v4, v4, 9, v2
	v_cndmask_b32_e32 v13, v2, v13, vcc
	v_cmp_eq_u32_e32 vcc, s11, v12
	v_lshrrev_b32_e32 v7, 16, v7
	v_lshl_or_b32 v10, v10, 9, v2
	v_cndmask_b32_e32 v4, v6, v4, vcc
	v_cmp_eq_u32_e32 vcc, s11, v14
	v_lshrrev_b32_e32 v11, 16, v11
	v_cndmask_b32_e32 v6, v13, v10, vcc
	v_and_or_b32 v4, v7, s14, v4
	v_and_or_b32 v6, v11, s14, v6
	v_and_b32_e32 v4, 0xffff, v4
	v_lshl_or_b32 v4, v6, 16, v4
	global_store_dword v[8:9], v4, off
	global_load_dword v0, v[0:1], off offset:2164
	v_lshrrev_b32_e32 v1, 16, v5
	s_waitcnt vmcnt(0)
	v_mul_f16_sdwa v4, v1, v0 dst_sel:DWORD dst_unused:UNUSED_PAD src0_sel:DWORD src1_sel:WORD_1
	v_fma_f16 v4, v5, v0, v4
	v_mul_f16_sdwa v5, v5, v0 dst_sel:DWORD dst_unused:UNUSED_PAD src0_sel:DWORD src1_sel:WORD_1
	v_cvt_f32_f16_e32 v4, v4
	v_fma_f16 v0, v0, v1, -v5
	v_cvt_f32_f16_e32 v5, v0
	v_cvt_f64_f32_e32 v[0:1], v4
	v_cvt_f64_f32_e32 v[4:5], v5
	v_mul_f64 v[0:1], v[0:1], s[12:13]
	v_mul_f64 v[4:5], v[4:5], s[12:13]
	v_and_or_b32 v0, v1, s15, v0
	v_cmp_ne_u32_e32 vcc, 0, v0
	v_and_or_b32 v4, v5, s15, v4
	v_lshrrev_b32_e32 v6, 8, v1
	v_bfe_u32 v7, v1, 20, 11
	v_cndmask_b32_e64 v0, 0, 1, vcc
	v_cmp_ne_u32_e32 vcc, 0, v4
	v_lshrrev_b32_e32 v10, 8, v5
	v_bfe_u32 v11, v5, 20, 11
	v_sub_u32_e32 v12, 0x3f1, v7
	v_cndmask_b32_e64 v4, 0, 1, vcc
	v_and_or_b32 v0, v6, s10, v0
	v_sub_u32_e32 v13, 0x3f1, v11
	v_med3_i32 v6, v12, 0, 13
	v_and_or_b32 v4, v10, s10, v4
	v_or_b32_e32 v12, 0x1000, v0
	v_add_u32_e32 v7, 0xfffffc10, v7
	v_med3_i32 v10, v13, 0, 13
	v_cmp_ne_u32_e32 vcc, 0, v0
	v_or_b32_e32 v14, 0x1000, v4
	v_lshrrev_b32_e32 v16, v6, v12
	v_add_u32_e32 v11, 0xfffffc10, v11
	v_lshl_or_b32 v13, v7, 12, v0
	v_cndmask_b32_e64 v0, 0, 1, vcc
	v_cmp_ne_u32_e32 vcc, 0, v4
	v_lshrrev_b32_e32 v17, v10, v14
	v_lshlrev_b32_e32 v6, v6, v16
	v_lshl_or_b32 v15, v11, 12, v4
	v_cndmask_b32_e64 v4, 0, 1, vcc
	v_lshlrev_b32_e32 v10, v10, v17
	v_cmp_ne_u32_e32 vcc, v6, v12
	v_cndmask_b32_e64 v6, 0, 1, vcc
	v_cmp_ne_u32_e32 vcc, v10, v14
	v_cndmask_b32_e64 v10, 0, 1, vcc
	v_or_b32_e32 v6, v16, v6
	v_cmp_gt_i32_e32 vcc, 1, v7
	v_cndmask_b32_e32 v6, v13, v6, vcc
	v_or_b32_e32 v10, v17, v10
	v_cmp_gt_i32_e32 vcc, 1, v11
	v_and_b32_e32 v12, 7, v6
	v_cndmask_b32_e32 v10, v15, v10, vcc
	v_cmp_lt_i32_e32 vcc, 5, v12
	v_cmp_eq_u32_e64 s[0:1], 3, v12
	v_lshrrev_b32_e32 v6, 2, v6
	v_and_b32_e32 v13, 7, v10
	s_or_b64 vcc, s[0:1], vcc
	v_cmp_lt_i32_e64 s[2:3], 5, v13
	v_cmp_eq_u32_e64 s[4:5], 3, v13
	v_addc_co_u32_e32 v6, vcc, 0, v6, vcc
	v_lshrrev_b32_e32 v10, 2, v10
	s_or_b64 vcc, s[4:5], s[2:3]
	v_addc_co_u32_e32 v10, vcc, 0, v10, vcc
	v_cmp_gt_i32_e32 vcc, 31, v7
	v_cndmask_b32_e32 v6, v2, v6, vcc
	v_cmp_gt_i32_e32 vcc, 31, v11
	v_lshl_or_b32 v0, v0, 9, v2
	v_lshl_or_b32 v4, v4, 9, v2
	v_cndmask_b32_e32 v2, v2, v10, vcc
	v_cmp_eq_u32_e32 vcc, s11, v7
	v_lshrrev_b32_e32 v1, 16, v1
	v_cndmask_b32_e32 v0, v6, v0, vcc
	v_cmp_eq_u32_e32 vcc, s11, v11
	v_lshrrev_b32_e32 v5, 16, v5
	v_cndmask_b32_e32 v2, v2, v4, vcc
	v_and_or_b32 v0, v1, s14, v0
	v_and_or_b32 v1, v5, s14, v2
	v_and_b32_e32 v0, 0xffff, v0
	v_lshl_or_b32 v2, v1, 16, v0
	v_add_co_u32_e32 v0, vcc, s6, v8
	v_addc_co_u32_e32 v1, vcc, v9, v3, vcc
	global_store_dword v[0:1], v2, off
.LBB0_15:
	s_endpgm
	.section	.rodata,"a",@progbits
	.p2align	6, 0x0
	.amdhsa_kernel bluestein_single_fwd_len1625_dim1_half_op_CI_CI
		.amdhsa_group_segment_fixed_size 13000
		.amdhsa_private_segment_fixed_size 0
		.amdhsa_kernarg_size 104
		.amdhsa_user_sgpr_count 6
		.amdhsa_user_sgpr_private_segment_buffer 1
		.amdhsa_user_sgpr_dispatch_ptr 0
		.amdhsa_user_sgpr_queue_ptr 0
		.amdhsa_user_sgpr_kernarg_segment_ptr 1
		.amdhsa_user_sgpr_dispatch_id 0
		.amdhsa_user_sgpr_flat_scratch_init 0
		.amdhsa_user_sgpr_private_segment_size 0
		.amdhsa_uses_dynamic_stack 0
		.amdhsa_system_sgpr_private_segment_wavefront_offset 0
		.amdhsa_system_sgpr_workgroup_id_x 1
		.amdhsa_system_sgpr_workgroup_id_y 0
		.amdhsa_system_sgpr_workgroup_id_z 0
		.amdhsa_system_sgpr_workgroup_info 0
		.amdhsa_system_vgpr_workitem_id 0
		.amdhsa_next_free_vgpr 211
		.amdhsa_next_free_sgpr 38
		.amdhsa_reserve_vcc 1
		.amdhsa_reserve_flat_scratch 0
		.amdhsa_float_round_mode_32 0
		.amdhsa_float_round_mode_16_64 0
		.amdhsa_float_denorm_mode_32 3
		.amdhsa_float_denorm_mode_16_64 3
		.amdhsa_dx10_clamp 1
		.amdhsa_ieee_mode 1
		.amdhsa_fp16_overflow 0
		.amdhsa_exception_fp_ieee_invalid_op 0
		.amdhsa_exception_fp_denorm_src 0
		.amdhsa_exception_fp_ieee_div_zero 0
		.amdhsa_exception_fp_ieee_overflow 0
		.amdhsa_exception_fp_ieee_underflow 0
		.amdhsa_exception_fp_ieee_inexact 0
		.amdhsa_exception_int_div_zero 0
	.end_amdhsa_kernel
	.text
.Lfunc_end0:
	.size	bluestein_single_fwd_len1625_dim1_half_op_CI_CI, .Lfunc_end0-bluestein_single_fwd_len1625_dim1_half_op_CI_CI
                                        ; -- End function
	.section	.AMDGPU.csdata,"",@progbits
; Kernel info:
; codeLenInByte = 47048
; NumSgprs: 42
; NumVgprs: 211
; ScratchSize: 0
; MemoryBound: 0
; FloatMode: 240
; IeeeMode: 1
; LDSByteSize: 13000 bytes/workgroup (compile time only)
; SGPRBlocks: 5
; VGPRBlocks: 52
; NumSGPRsForWavesPerEU: 42
; NumVGPRsForWavesPerEU: 211
; Occupancy: 1
; WaveLimiterHint : 1
; COMPUTE_PGM_RSRC2:SCRATCH_EN: 0
; COMPUTE_PGM_RSRC2:USER_SGPR: 6
; COMPUTE_PGM_RSRC2:TRAP_HANDLER: 0
; COMPUTE_PGM_RSRC2:TGID_X_EN: 1
; COMPUTE_PGM_RSRC2:TGID_Y_EN: 0
; COMPUTE_PGM_RSRC2:TGID_Z_EN: 0
; COMPUTE_PGM_RSRC2:TIDIG_COMP_CNT: 0
	.type	__hip_cuid_4338c036a640da25,@object ; @__hip_cuid_4338c036a640da25
	.section	.bss,"aw",@nobits
	.globl	__hip_cuid_4338c036a640da25
__hip_cuid_4338c036a640da25:
	.byte	0                               ; 0x0
	.size	__hip_cuid_4338c036a640da25, 1

	.ident	"AMD clang version 19.0.0git (https://github.com/RadeonOpenCompute/llvm-project roc-6.4.0 25133 c7fe45cf4b819c5991fe208aaa96edf142730f1d)"
	.section	".note.GNU-stack","",@progbits
	.addrsig
	.addrsig_sym __hip_cuid_4338c036a640da25
	.amdgpu_metadata
---
amdhsa.kernels:
  - .args:
      - .actual_access:  read_only
        .address_space:  global
        .offset:         0
        .size:           8
        .value_kind:     global_buffer
      - .actual_access:  read_only
        .address_space:  global
        .offset:         8
        .size:           8
        .value_kind:     global_buffer
      - .actual_access:  read_only
        .address_space:  global
        .offset:         16
        .size:           8
        .value_kind:     global_buffer
      - .actual_access:  read_only
        .address_space:  global
        .offset:         24
        .size:           8
        .value_kind:     global_buffer
      - .actual_access:  read_only
        .address_space:  global
        .offset:         32
        .size:           8
        .value_kind:     global_buffer
      - .offset:         40
        .size:           8
        .value_kind:     by_value
      - .address_space:  global
        .offset:         48
        .size:           8
        .value_kind:     global_buffer
      - .address_space:  global
        .offset:         56
        .size:           8
        .value_kind:     global_buffer
      - .address_space:  global
        .offset:         64
        .size:           8
        .value_kind:     global_buffer
      - .address_space:  global
        .offset:         72
        .size:           8
        .value_kind:     global_buffer
      - .offset:         80
        .size:           4
        .value_kind:     by_value
      - .address_space:  global
        .offset:         88
        .size:           8
        .value_kind:     global_buffer
      - .address_space:  global
        .offset:         96
        .size:           8
        .value_kind:     global_buffer
    .group_segment_fixed_size: 13000
    .kernarg_segment_align: 8
    .kernarg_segment_size: 104
    .language:       OpenCL C
    .language_version:
      - 2
      - 0
    .max_flat_workgroup_size: 130
    .name:           bluestein_single_fwd_len1625_dim1_half_op_CI_CI
    .private_segment_fixed_size: 0
    .sgpr_count:     42
    .sgpr_spill_count: 0
    .symbol:         bluestein_single_fwd_len1625_dim1_half_op_CI_CI.kd
    .uniform_work_group_size: 1
    .uses_dynamic_stack: false
    .vgpr_count:     211
    .vgpr_spill_count: 0
    .wavefront_size: 64
amdhsa.target:   amdgcn-amd-amdhsa--gfx906
amdhsa.version:
  - 1
  - 2
...

	.end_amdgpu_metadata
